;; amdgpu-corpus repo=ROCm/rocSPARSE kind=compiled arch=gfx950 opt=O3
	.amdgcn_target "amdgcn-amd-amdhsa--gfx950"
	.amdhsa_code_object_version 6
	.section	.text._ZN9rocsparseL22dense_transpose_kernelILj32ELj8EiffEEvT1_S1_T3_PKT2_lPS3_l,"axG",@progbits,_ZN9rocsparseL22dense_transpose_kernelILj32ELj8EiffEEvT1_S1_T3_PKT2_lPS3_l,comdat
	.globl	_ZN9rocsparseL22dense_transpose_kernelILj32ELj8EiffEEvT1_S1_T3_PKT2_lPS3_l ; -- Begin function _ZN9rocsparseL22dense_transpose_kernelILj32ELj8EiffEEvT1_S1_T3_PKT2_lPS3_l
	.p2align	8
	.type	_ZN9rocsparseL22dense_transpose_kernelILj32ELj8EiffEEvT1_S1_T3_PKT2_lPS3_l,@function
_ZN9rocsparseL22dense_transpose_kernelILj32ELj8EiffEEvT1_S1_T3_PKT2_lPS3_l: ; @_ZN9rocsparseL22dense_transpose_kernelILj32ELj8EiffEEvT1_S1_T3_PKT2_lPS3_l
; %bb.0:
	s_load_dwordx4 s[16:19], s[0:1], 0x0
	s_waitcnt lgkmcnt(0)
	s_cmp_lt_i32 s17, 1
	s_cbranch_scc1 .LBB0_20
; %bb.1:
	s_load_dwordx8 s[8:15], s[0:1], 0x10
	v_and_b32_e32 v12, 31, v0
	s_lshl_b32 s0, s2, 5
	v_or_b32_e32 v2, s0, v12
	v_lshrrev_b32_e32 v13, 5, v0
	s_waitcnt lgkmcnt(0)
	v_mov_b32_e32 v0, s8
	v_mov_b32_e32 v1, s9
	v_ashrrev_i32_e32 v3, 31, v2
	v_cmp_gt_i32_e32 vcc, s16, v2
	v_lshl_add_u64 v[0:1], v[2:3], 2, v[0:1]
	v_lshlrev_b32_e32 v2, 2, v12
	v_or_b32_e32 v10, s0, v13
	v_lshl_or_b32 v14, v13, 7, v2
	v_lshlrev_b32_e32 v2, 2, v13
	v_lshl_or_b32 v15, v12, 7, v2
	v_mad_u64_u32 v[2:3], s[2:3], s14, v10, 0
	v_mov_b32_e32 v4, v3
	v_mad_u64_u32 v[4:5], s[2:3], s15, v10, v[4:5]
	v_or_b32_e32 v7, 8, v10
	v_mov_b32_e32 v3, v4
	v_mad_u64_u32 v[4:5], s[4:5], s14, v7, 0
	v_mov_b32_e32 v6, v5
	v_cmp_le_u32_e64 s[2:3], s16, v7
	v_mad_u64_u32 v[6:7], s[4:5], s15, v7, v[6:7]
	v_or_b32_e32 v9, 16, v10
	v_mov_b32_e32 v5, v6
	v_mad_u64_u32 v[6:7], s[6:7], s14, v9, 0
	v_mov_b32_e32 v8, v7
	v_cmp_le_u32_e64 s[4:5], s16, v9
	v_mad_u64_u32 v[8:9], s[6:7], s15, v9, v[8:9]
	v_or_b32_e32 v11, 24, v10
	v_mov_b32_e32 v7, v8
	v_mad_u64_u32 v[8:9], s[8:9], s14, v11, 0
	v_cmp_le_u32_e64 s[0:1], s16, v10
	v_mov_b32_e32 v10, v9
	v_cmp_le_u32_e64 s[6:7], s16, v11
	v_mad_u64_u32 v[10:11], s[8:9], s15, v11, v[10:11]
	v_mov_b32_e32 v9, v10
	s_mov_b32 s16, 0
	s_branch .LBB0_3
.LBB0_2:                                ;   in Loop: Header=BB0_3 Depth=1
	s_or_b64 exec, exec, s[8:9]
	s_add_i32 s16, s16, 32
	s_cmp_lt_i32 s16, s17
	s_cbranch_scc0 .LBB0_20
.LBB0_3:                                ; =>This Inner Loop Header: Depth=1
	v_add_u32_e32 v10, s16, v13
	v_cmp_gt_u32_e64 s[8:9], s17, v10
	s_and_b64 s[14:15], vcc, s[8:9]
	s_barrier
	s_and_saveexec_b64 s[8:9], s[14:15]
	s_cbranch_execz .LBB0_5
; %bb.4:                                ;   in Loop: Header=BB0_3 Depth=1
	v_mad_u64_u32 v[16:17], s[14:15], s10, v10, 0
	v_mov_b32_e32 v18, v17
	v_mad_u64_u32 v[18:19], s[14:15], s11, v10, v[18:19]
	v_mov_b32_e32 v17, v18
	v_lshl_add_u64 v[16:17], v[16:17], 2, v[0:1]
	global_load_dword v11, v[16:17], off
	s_waitcnt vmcnt(0)
	ds_write_b32 v14, v11
.LBB0_5:                                ;   in Loop: Header=BB0_3 Depth=1
	s_or_b64 exec, exec, s[8:9]
	s_and_saveexec_b64 s[14:15], vcc
	s_cbranch_execz .LBB0_12
; %bb.6:                                ;   in Loop: Header=BB0_3 Depth=1
	v_add_u32_e32 v11, 8, v10
	v_cmp_gt_u32_e64 s[8:9], s17, v11
	s_and_saveexec_b64 s[20:21], s[8:9]
	s_cbranch_execz .LBB0_8
; %bb.7:                                ;   in Loop: Header=BB0_3 Depth=1
	v_mad_u64_u32 v[16:17], s[8:9], s10, v11, 0
	v_mov_b32_e32 v18, v17
	v_mad_u64_u32 v[18:19], s[8:9], s11, v11, v[18:19]
	v_mov_b32_e32 v17, v18
	v_lshl_add_u64 v[16:17], v[16:17], 2, v[0:1]
	global_load_dword v11, v[16:17], off
	s_waitcnt vmcnt(0)
	ds_write_b32 v14, v11 offset:1024
.LBB0_8:                                ;   in Loop: Header=BB0_3 Depth=1
	s_or_b64 exec, exec, s[20:21]
	v_add_u32_e32 v11, 16, v10
	v_cmp_gt_u32_e64 s[8:9], s17, v11
	s_and_saveexec_b64 s[20:21], s[8:9]
	s_cbranch_execz .LBB0_10
; %bb.9:                                ;   in Loop: Header=BB0_3 Depth=1
	v_mad_u64_u32 v[16:17], s[8:9], s10, v11, 0
	v_mov_b32_e32 v18, v17
	v_mad_u64_u32 v[18:19], s[8:9], s11, v11, v[18:19]
	v_mov_b32_e32 v17, v18
	v_lshl_add_u64 v[16:17], v[16:17], 2, v[0:1]
	global_load_dword v11, v[16:17], off
	s_waitcnt vmcnt(0)
	ds_write_b32 v14, v11 offset:2048
.LBB0_10:                               ;   in Loop: Header=BB0_3 Depth=1
	s_or_b64 exec, exec, s[20:21]
	v_add_u32_e32 v10, 24, v10
	v_cmp_gt_u32_e64 s[8:9], s17, v10
	s_and_b64 exec, exec, s[8:9]
	s_cbranch_execz .LBB0_12
; %bb.11:                               ;   in Loop: Header=BB0_3 Depth=1
	v_mad_u64_u32 v[16:17], s[8:9], s10, v10, 0
	v_mov_b32_e32 v18, v17
	v_mad_u64_u32 v[10:11], s[8:9], s11, v10, v[18:19]
	v_mov_b32_e32 v17, v10
	v_lshl_add_u64 v[10:11], v[16:17], 2, v[0:1]
	global_load_dword v10, v[10:11], off
	s_waitcnt vmcnt(0)
	ds_write_b32 v14, v10 offset:3072
.LBB0_12:                               ;   in Loop: Header=BB0_3 Depth=1
	s_or_b64 exec, exec, s[14:15]
	v_add_u32_e32 v10, s16, v12
	v_cmp_le_i32_e64 s[8:9], s17, v10
	v_ashrrev_i32_e32 v11, 31, v10
	v_lshl_add_u64 v[10:11], v[10:11], 2, s[12:13]
	s_nor_b64 s[20:21], s[8:9], s[0:1]
	s_waitcnt lgkmcnt(0)
	s_barrier
	s_and_saveexec_b64 s[14:15], s[20:21]
	s_cbranch_execnz .LBB0_16
; %bb.13:                               ;   in Loop: Header=BB0_3 Depth=1
	s_or_b64 exec, exec, s[14:15]
	s_nor_b64 s[20:21], s[8:9], s[2:3]
	s_and_saveexec_b64 s[14:15], s[20:21]
	s_cbranch_execnz .LBB0_17
.LBB0_14:                               ;   in Loop: Header=BB0_3 Depth=1
	s_or_b64 exec, exec, s[14:15]
	s_nor_b64 s[20:21], s[8:9], s[4:5]
	s_and_saveexec_b64 s[14:15], s[20:21]
	s_cbranch_execnz .LBB0_18
.LBB0_15:                               ;   in Loop: Header=BB0_3 Depth=1
	s_or_b64 exec, exec, s[14:15]
	s_nor_b64 s[14:15], s[8:9], s[6:7]
	s_and_saveexec_b64 s[8:9], s[14:15]
	s_cbranch_execz .LBB0_2
	s_branch .LBB0_19
.LBB0_16:                               ;   in Loop: Header=BB0_3 Depth=1
	ds_read_b32 v18, v15
	v_lshl_add_u64 v[16:17], v[2:3], 2, v[10:11]
	s_waitcnt lgkmcnt(0)
	v_mul_f32_e32 v18, s18, v18
	global_store_dword v[16:17], v18, off
	s_or_b64 exec, exec, s[14:15]
	s_nor_b64 s[20:21], s[8:9], s[2:3]
	s_and_saveexec_b64 s[14:15], s[20:21]
	s_cbranch_execz .LBB0_14
.LBB0_17:                               ;   in Loop: Header=BB0_3 Depth=1
	ds_read_b32 v18, v15 offset:32
	v_lshl_add_u64 v[16:17], v[4:5], 2, v[10:11]
	s_waitcnt lgkmcnt(0)
	v_mul_f32_e32 v18, s18, v18
	global_store_dword v[16:17], v18, off
	s_or_b64 exec, exec, s[14:15]
	s_nor_b64 s[20:21], s[8:9], s[4:5]
	s_and_saveexec_b64 s[14:15], s[20:21]
	s_cbranch_execz .LBB0_15
.LBB0_18:                               ;   in Loop: Header=BB0_3 Depth=1
	ds_read_b32 v18, v15 offset:64
	v_lshl_add_u64 v[16:17], v[6:7], 2, v[10:11]
	s_waitcnt lgkmcnt(0)
	v_mul_f32_e32 v18, s18, v18
	global_store_dword v[16:17], v18, off
	s_or_b64 exec, exec, s[14:15]
	s_nor_b64 s[14:15], s[8:9], s[6:7]
	s_and_saveexec_b64 s[8:9], s[14:15]
	s_cbranch_execz .LBB0_2
.LBB0_19:                               ;   in Loop: Header=BB0_3 Depth=1
	ds_read_b32 v16, v15 offset:96
	v_lshl_add_u64 v[10:11], v[8:9], 2, v[10:11]
	s_waitcnt lgkmcnt(0)
	v_mul_f32_e32 v16, s18, v16
	global_store_dword v[10:11], v16, off
	s_branch .LBB0_2
.LBB0_20:
	s_endpgm
	.section	.rodata,"a",@progbits
	.p2align	6, 0x0
	.amdhsa_kernel _ZN9rocsparseL22dense_transpose_kernelILj32ELj8EiffEEvT1_S1_T3_PKT2_lPS3_l
		.amdhsa_group_segment_fixed_size 4096
		.amdhsa_private_segment_fixed_size 0
		.amdhsa_kernarg_size 48
		.amdhsa_user_sgpr_count 2
		.amdhsa_user_sgpr_dispatch_ptr 0
		.amdhsa_user_sgpr_queue_ptr 0
		.amdhsa_user_sgpr_kernarg_segment_ptr 1
		.amdhsa_user_sgpr_dispatch_id 0
		.amdhsa_user_sgpr_kernarg_preload_length 0
		.amdhsa_user_sgpr_kernarg_preload_offset 0
		.amdhsa_user_sgpr_private_segment_size 0
		.amdhsa_uses_dynamic_stack 0
		.amdhsa_enable_private_segment 0
		.amdhsa_system_sgpr_workgroup_id_x 1
		.amdhsa_system_sgpr_workgroup_id_y 0
		.amdhsa_system_sgpr_workgroup_id_z 0
		.amdhsa_system_sgpr_workgroup_info 0
		.amdhsa_system_vgpr_workitem_id 0
		.amdhsa_next_free_vgpr 20
		.amdhsa_next_free_sgpr 22
		.amdhsa_accum_offset 20
		.amdhsa_reserve_vcc 1
		.amdhsa_float_round_mode_32 0
		.amdhsa_float_round_mode_16_64 0
		.amdhsa_float_denorm_mode_32 3
		.amdhsa_float_denorm_mode_16_64 3
		.amdhsa_dx10_clamp 1
		.amdhsa_ieee_mode 1
		.amdhsa_fp16_overflow 0
		.amdhsa_tg_split 0
		.amdhsa_exception_fp_ieee_invalid_op 0
		.amdhsa_exception_fp_denorm_src 0
		.amdhsa_exception_fp_ieee_div_zero 0
		.amdhsa_exception_fp_ieee_overflow 0
		.amdhsa_exception_fp_ieee_underflow 0
		.amdhsa_exception_fp_ieee_inexact 0
		.amdhsa_exception_int_div_zero 0
	.end_amdhsa_kernel
	.section	.text._ZN9rocsparseL22dense_transpose_kernelILj32ELj8EiffEEvT1_S1_T3_PKT2_lPS3_l,"axG",@progbits,_ZN9rocsparseL22dense_transpose_kernelILj32ELj8EiffEEvT1_S1_T3_PKT2_lPS3_l,comdat
.Lfunc_end0:
	.size	_ZN9rocsparseL22dense_transpose_kernelILj32ELj8EiffEEvT1_S1_T3_PKT2_lPS3_l, .Lfunc_end0-_ZN9rocsparseL22dense_transpose_kernelILj32ELj8EiffEEvT1_S1_T3_PKT2_lPS3_l
                                        ; -- End function
	.set _ZN9rocsparseL22dense_transpose_kernelILj32ELj8EiffEEvT1_S1_T3_PKT2_lPS3_l.num_vgpr, 20
	.set _ZN9rocsparseL22dense_transpose_kernelILj32ELj8EiffEEvT1_S1_T3_PKT2_lPS3_l.num_agpr, 0
	.set _ZN9rocsparseL22dense_transpose_kernelILj32ELj8EiffEEvT1_S1_T3_PKT2_lPS3_l.numbered_sgpr, 22
	.set _ZN9rocsparseL22dense_transpose_kernelILj32ELj8EiffEEvT1_S1_T3_PKT2_lPS3_l.num_named_barrier, 0
	.set _ZN9rocsparseL22dense_transpose_kernelILj32ELj8EiffEEvT1_S1_T3_PKT2_lPS3_l.private_seg_size, 0
	.set _ZN9rocsparseL22dense_transpose_kernelILj32ELj8EiffEEvT1_S1_T3_PKT2_lPS3_l.uses_vcc, 1
	.set _ZN9rocsparseL22dense_transpose_kernelILj32ELj8EiffEEvT1_S1_T3_PKT2_lPS3_l.uses_flat_scratch, 0
	.set _ZN9rocsparseL22dense_transpose_kernelILj32ELj8EiffEEvT1_S1_T3_PKT2_lPS3_l.has_dyn_sized_stack, 0
	.set _ZN9rocsparseL22dense_transpose_kernelILj32ELj8EiffEEvT1_S1_T3_PKT2_lPS3_l.has_recursion, 0
	.set _ZN9rocsparseL22dense_transpose_kernelILj32ELj8EiffEEvT1_S1_T3_PKT2_lPS3_l.has_indirect_call, 0
	.section	.AMDGPU.csdata,"",@progbits
; Kernel info:
; codeLenInByte = 864
; TotalNumSgprs: 28
; NumVgprs: 20
; NumAgprs: 0
; TotalNumVgprs: 20
; ScratchSize: 0
; MemoryBound: 0
; FloatMode: 240
; IeeeMode: 1
; LDSByteSize: 4096 bytes/workgroup (compile time only)
; SGPRBlocks: 3
; VGPRBlocks: 2
; NumSGPRsForWavesPerEU: 28
; NumVGPRsForWavesPerEU: 20
; AccumOffset: 20
; Occupancy: 8
; WaveLimiterHint : 0
; COMPUTE_PGM_RSRC2:SCRATCH_EN: 0
; COMPUTE_PGM_RSRC2:USER_SGPR: 2
; COMPUTE_PGM_RSRC2:TRAP_HANDLER: 0
; COMPUTE_PGM_RSRC2:TGID_X_EN: 1
; COMPUTE_PGM_RSRC2:TGID_Y_EN: 0
; COMPUTE_PGM_RSRC2:TGID_Z_EN: 0
; COMPUTE_PGM_RSRC2:TIDIG_COMP_CNT: 0
; COMPUTE_PGM_RSRC3_GFX90A:ACCUM_OFFSET: 4
; COMPUTE_PGM_RSRC3_GFX90A:TG_SPLIT: 0
	.section	.text._ZN9rocsparseL22dense_transpose_kernelILj32ELj8EifPKfEEvT1_S3_T3_PKT2_lPS5_l,"axG",@progbits,_ZN9rocsparseL22dense_transpose_kernelILj32ELj8EifPKfEEvT1_S3_T3_PKT2_lPS5_l,comdat
	.globl	_ZN9rocsparseL22dense_transpose_kernelILj32ELj8EifPKfEEvT1_S3_T3_PKT2_lPS5_l ; -- Begin function _ZN9rocsparseL22dense_transpose_kernelILj32ELj8EifPKfEEvT1_S3_T3_PKT2_lPS5_l
	.p2align	8
	.type	_ZN9rocsparseL22dense_transpose_kernelILj32ELj8EifPKfEEvT1_S3_T3_PKT2_lPS5_l,@function
_ZN9rocsparseL22dense_transpose_kernelILj32ELj8EifPKfEEvT1_S3_T3_PKT2_lPS5_l: ; @_ZN9rocsparseL22dense_transpose_kernelILj32ELj8EifPKfEEvT1_S3_T3_PKT2_lPS5_l
; %bb.0:
	s_load_dwordx2 s[16:17], s[0:1], 0x0
	s_waitcnt lgkmcnt(0)
	s_cmp_lt_i32 s17, 1
	s_cbranch_scc1 .LBB1_20
; %bb.1:
	s_load_dwordx8 s[8:15], s[0:1], 0x8
	s_load_dwordx2 s[18:19], s[0:1], 0x28
	v_and_b32_e32 v12, 31, v0
	s_lshl_b32 s0, s2, 5
	v_lshrrev_b32_e32 v13, 5, v0
	v_or_b32_e32 v0, s0, v12
	s_waitcnt lgkmcnt(0)
	v_mov_b32_e32 v2, s10
	v_mov_b32_e32 v3, s11
	v_ashrrev_i32_e32 v1, 31, v0
	v_cmp_gt_i32_e32 vcc, s16, v0
	v_lshl_add_u64 v[0:1], v[0:1], 2, v[2:3]
	v_lshlrev_b32_e32 v2, 2, v12
	v_or_b32_e32 v10, s0, v13
	v_lshl_or_b32 v14, v13, 7, v2
	v_lshlrev_b32_e32 v2, 2, v13
	v_lshl_or_b32 v15, v12, 7, v2
	v_mad_u64_u32 v[2:3], s[2:3], s18, v10, 0
	v_mov_b32_e32 v4, v3
	v_mad_u64_u32 v[4:5], s[2:3], s19, v10, v[4:5]
	v_or_b32_e32 v7, 8, v10
	v_mov_b32_e32 v3, v4
	v_mad_u64_u32 v[4:5], s[4:5], s18, v7, 0
	v_mov_b32_e32 v6, v5
	v_cmp_le_u32_e64 s[2:3], s16, v7
	v_mad_u64_u32 v[6:7], s[4:5], s19, v7, v[6:7]
	v_or_b32_e32 v9, 16, v10
	v_mov_b32_e32 v5, v6
	v_mad_u64_u32 v[6:7], s[6:7], s18, v9, 0
	v_mov_b32_e32 v8, v7
	s_load_dword s20, s[8:9], 0x0
	v_cmp_le_u32_e64 s[4:5], s16, v9
	v_mad_u64_u32 v[8:9], s[6:7], s19, v9, v[8:9]
	v_or_b32_e32 v11, 24, v10
	v_mov_b32_e32 v7, v8
	v_mad_u64_u32 v[8:9], s[8:9], s18, v11, 0
	v_cmp_le_u32_e64 s[0:1], s16, v10
	v_mov_b32_e32 v10, v9
	v_cmp_le_u32_e64 s[6:7], s16, v11
	v_mad_u64_u32 v[10:11], s[8:9], s19, v11, v[10:11]
	v_mov_b32_e32 v9, v10
	s_mov_b32 s16, 0
	s_branch .LBB1_3
.LBB1_2:                                ;   in Loop: Header=BB1_3 Depth=1
	s_or_b64 exec, exec, s[8:9]
	s_add_i32 s16, s16, 32
	s_cmp_lt_i32 s16, s17
	s_cbranch_scc0 .LBB1_20
.LBB1_3:                                ; =>This Inner Loop Header: Depth=1
	v_add_u32_e32 v10, s16, v13
	v_cmp_gt_u32_e64 s[8:9], s17, v10
	s_and_b64 s[10:11], vcc, s[8:9]
	s_waitcnt lgkmcnt(0)
	s_barrier
	s_and_saveexec_b64 s[8:9], s[10:11]
	s_cbranch_execz .LBB1_5
; %bb.4:                                ;   in Loop: Header=BB1_3 Depth=1
	v_mad_u64_u32 v[16:17], s[10:11], s12, v10, 0
	v_mov_b32_e32 v18, v17
	v_mad_u64_u32 v[18:19], s[10:11], s13, v10, v[18:19]
	v_mov_b32_e32 v17, v18
	v_lshl_add_u64 v[16:17], v[16:17], 2, v[0:1]
	global_load_dword v11, v[16:17], off
	s_waitcnt vmcnt(0)
	ds_write_b32 v14, v11
.LBB1_5:                                ;   in Loop: Header=BB1_3 Depth=1
	s_or_b64 exec, exec, s[8:9]
	s_and_saveexec_b64 s[10:11], vcc
	s_cbranch_execz .LBB1_12
; %bb.6:                                ;   in Loop: Header=BB1_3 Depth=1
	v_add_u32_e32 v11, 8, v10
	v_cmp_gt_u32_e64 s[8:9], s17, v11
	s_and_saveexec_b64 s[18:19], s[8:9]
	s_cbranch_execz .LBB1_8
; %bb.7:                                ;   in Loop: Header=BB1_3 Depth=1
	v_mad_u64_u32 v[16:17], s[8:9], s12, v11, 0
	v_mov_b32_e32 v18, v17
	v_mad_u64_u32 v[18:19], s[8:9], s13, v11, v[18:19]
	v_mov_b32_e32 v17, v18
	v_lshl_add_u64 v[16:17], v[16:17], 2, v[0:1]
	global_load_dword v11, v[16:17], off
	s_waitcnt vmcnt(0)
	ds_write_b32 v14, v11 offset:1024
.LBB1_8:                                ;   in Loop: Header=BB1_3 Depth=1
	s_or_b64 exec, exec, s[18:19]
	v_add_u32_e32 v11, 16, v10
	v_cmp_gt_u32_e64 s[8:9], s17, v11
	s_and_saveexec_b64 s[18:19], s[8:9]
	s_cbranch_execz .LBB1_10
; %bb.9:                                ;   in Loop: Header=BB1_3 Depth=1
	v_mad_u64_u32 v[16:17], s[8:9], s12, v11, 0
	v_mov_b32_e32 v18, v17
	v_mad_u64_u32 v[18:19], s[8:9], s13, v11, v[18:19]
	v_mov_b32_e32 v17, v18
	v_lshl_add_u64 v[16:17], v[16:17], 2, v[0:1]
	global_load_dword v11, v[16:17], off
	s_waitcnt vmcnt(0)
	ds_write_b32 v14, v11 offset:2048
.LBB1_10:                               ;   in Loop: Header=BB1_3 Depth=1
	s_or_b64 exec, exec, s[18:19]
	v_add_u32_e32 v10, 24, v10
	v_cmp_gt_u32_e64 s[8:9], s17, v10
	s_and_b64 exec, exec, s[8:9]
	s_cbranch_execz .LBB1_12
; %bb.11:                               ;   in Loop: Header=BB1_3 Depth=1
	v_mad_u64_u32 v[16:17], s[8:9], s12, v10, 0
	v_mov_b32_e32 v18, v17
	v_mad_u64_u32 v[10:11], s[8:9], s13, v10, v[18:19]
	v_mov_b32_e32 v17, v10
	v_lshl_add_u64 v[10:11], v[16:17], 2, v[0:1]
	global_load_dword v10, v[10:11], off
	s_waitcnt vmcnt(0)
	ds_write_b32 v14, v10 offset:3072
.LBB1_12:                               ;   in Loop: Header=BB1_3 Depth=1
	s_or_b64 exec, exec, s[10:11]
	v_add_u32_e32 v10, s16, v12
	v_cmp_le_i32_e64 s[8:9], s17, v10
	v_ashrrev_i32_e32 v11, 31, v10
	v_lshl_add_u64 v[10:11], v[10:11], 2, s[14:15]
	s_nor_b64 s[18:19], s[8:9], s[0:1]
	s_waitcnt lgkmcnt(0)
	s_barrier
	s_and_saveexec_b64 s[10:11], s[18:19]
	s_cbranch_execnz .LBB1_16
; %bb.13:                               ;   in Loop: Header=BB1_3 Depth=1
	s_or_b64 exec, exec, s[10:11]
	s_nor_b64 s[18:19], s[8:9], s[2:3]
	s_and_saveexec_b64 s[10:11], s[18:19]
	s_cbranch_execnz .LBB1_17
.LBB1_14:                               ;   in Loop: Header=BB1_3 Depth=1
	s_or_b64 exec, exec, s[10:11]
	s_nor_b64 s[18:19], s[8:9], s[4:5]
	s_and_saveexec_b64 s[10:11], s[18:19]
	s_cbranch_execnz .LBB1_18
.LBB1_15:                               ;   in Loop: Header=BB1_3 Depth=1
	s_or_b64 exec, exec, s[10:11]
	s_nor_b64 s[10:11], s[8:9], s[6:7]
	s_and_saveexec_b64 s[8:9], s[10:11]
	s_cbranch_execz .LBB1_2
	s_branch .LBB1_19
.LBB1_16:                               ;   in Loop: Header=BB1_3 Depth=1
	ds_read_b32 v18, v15
	v_lshl_add_u64 v[16:17], v[2:3], 2, v[10:11]
	s_waitcnt lgkmcnt(0)
	v_mul_f32_e32 v18, s20, v18
	global_store_dword v[16:17], v18, off
	s_or_b64 exec, exec, s[10:11]
	s_nor_b64 s[18:19], s[8:9], s[2:3]
	s_and_saveexec_b64 s[10:11], s[18:19]
	s_cbranch_execz .LBB1_14
.LBB1_17:                               ;   in Loop: Header=BB1_3 Depth=1
	ds_read_b32 v18, v15 offset:32
	v_lshl_add_u64 v[16:17], v[4:5], 2, v[10:11]
	s_waitcnt lgkmcnt(0)
	v_mul_f32_e32 v18, s20, v18
	global_store_dword v[16:17], v18, off
	s_or_b64 exec, exec, s[10:11]
	s_nor_b64 s[18:19], s[8:9], s[4:5]
	s_and_saveexec_b64 s[10:11], s[18:19]
	s_cbranch_execz .LBB1_15
.LBB1_18:                               ;   in Loop: Header=BB1_3 Depth=1
	ds_read_b32 v18, v15 offset:64
	v_lshl_add_u64 v[16:17], v[6:7], 2, v[10:11]
	s_waitcnt lgkmcnt(0)
	v_mul_f32_e32 v18, s20, v18
	global_store_dword v[16:17], v18, off
	s_or_b64 exec, exec, s[10:11]
	s_nor_b64 s[10:11], s[8:9], s[6:7]
	s_and_saveexec_b64 s[8:9], s[10:11]
	s_cbranch_execz .LBB1_2
.LBB1_19:                               ;   in Loop: Header=BB1_3 Depth=1
	ds_read_b32 v16, v15 offset:96
	v_lshl_add_u64 v[10:11], v[8:9], 2, v[10:11]
	s_waitcnt lgkmcnt(0)
	v_mul_f32_e32 v16, s20, v16
	global_store_dword v[10:11], v16, off
	s_branch .LBB1_2
.LBB1_20:
	s_endpgm
	.section	.rodata,"a",@progbits
	.p2align	6, 0x0
	.amdhsa_kernel _ZN9rocsparseL22dense_transpose_kernelILj32ELj8EifPKfEEvT1_S3_T3_PKT2_lPS5_l
		.amdhsa_group_segment_fixed_size 4096
		.amdhsa_private_segment_fixed_size 0
		.amdhsa_kernarg_size 48
		.amdhsa_user_sgpr_count 2
		.amdhsa_user_sgpr_dispatch_ptr 0
		.amdhsa_user_sgpr_queue_ptr 0
		.amdhsa_user_sgpr_kernarg_segment_ptr 1
		.amdhsa_user_sgpr_dispatch_id 0
		.amdhsa_user_sgpr_kernarg_preload_length 0
		.amdhsa_user_sgpr_kernarg_preload_offset 0
		.amdhsa_user_sgpr_private_segment_size 0
		.amdhsa_uses_dynamic_stack 0
		.amdhsa_enable_private_segment 0
		.amdhsa_system_sgpr_workgroup_id_x 1
		.amdhsa_system_sgpr_workgroup_id_y 0
		.amdhsa_system_sgpr_workgroup_id_z 0
		.amdhsa_system_sgpr_workgroup_info 0
		.amdhsa_system_vgpr_workitem_id 0
		.amdhsa_next_free_vgpr 20
		.amdhsa_next_free_sgpr 21
		.amdhsa_accum_offset 20
		.amdhsa_reserve_vcc 1
		.amdhsa_float_round_mode_32 0
		.amdhsa_float_round_mode_16_64 0
		.amdhsa_float_denorm_mode_32 3
		.amdhsa_float_denorm_mode_16_64 3
		.amdhsa_dx10_clamp 1
		.amdhsa_ieee_mode 1
		.amdhsa_fp16_overflow 0
		.amdhsa_tg_split 0
		.amdhsa_exception_fp_ieee_invalid_op 0
		.amdhsa_exception_fp_denorm_src 0
		.amdhsa_exception_fp_ieee_div_zero 0
		.amdhsa_exception_fp_ieee_overflow 0
		.amdhsa_exception_fp_ieee_underflow 0
		.amdhsa_exception_fp_ieee_inexact 0
		.amdhsa_exception_int_div_zero 0
	.end_amdhsa_kernel
	.section	.text._ZN9rocsparseL22dense_transpose_kernelILj32ELj8EifPKfEEvT1_S3_T3_PKT2_lPS5_l,"axG",@progbits,_ZN9rocsparseL22dense_transpose_kernelILj32ELj8EifPKfEEvT1_S3_T3_PKT2_lPS5_l,comdat
.Lfunc_end1:
	.size	_ZN9rocsparseL22dense_transpose_kernelILj32ELj8EifPKfEEvT1_S3_T3_PKT2_lPS5_l, .Lfunc_end1-_ZN9rocsparseL22dense_transpose_kernelILj32ELj8EifPKfEEvT1_S3_T3_PKT2_lPS5_l
                                        ; -- End function
	.set _ZN9rocsparseL22dense_transpose_kernelILj32ELj8EifPKfEEvT1_S3_T3_PKT2_lPS5_l.num_vgpr, 20
	.set _ZN9rocsparseL22dense_transpose_kernelILj32ELj8EifPKfEEvT1_S3_T3_PKT2_lPS5_l.num_agpr, 0
	.set _ZN9rocsparseL22dense_transpose_kernelILj32ELj8EifPKfEEvT1_S3_T3_PKT2_lPS5_l.numbered_sgpr, 21
	.set _ZN9rocsparseL22dense_transpose_kernelILj32ELj8EifPKfEEvT1_S3_T3_PKT2_lPS5_l.num_named_barrier, 0
	.set _ZN9rocsparseL22dense_transpose_kernelILj32ELj8EifPKfEEvT1_S3_T3_PKT2_lPS5_l.private_seg_size, 0
	.set _ZN9rocsparseL22dense_transpose_kernelILj32ELj8EifPKfEEvT1_S3_T3_PKT2_lPS5_l.uses_vcc, 1
	.set _ZN9rocsparseL22dense_transpose_kernelILj32ELj8EifPKfEEvT1_S3_T3_PKT2_lPS5_l.uses_flat_scratch, 0
	.set _ZN9rocsparseL22dense_transpose_kernelILj32ELj8EifPKfEEvT1_S3_T3_PKT2_lPS5_l.has_dyn_sized_stack, 0
	.set _ZN9rocsparseL22dense_transpose_kernelILj32ELj8EifPKfEEvT1_S3_T3_PKT2_lPS5_l.has_recursion, 0
	.set _ZN9rocsparseL22dense_transpose_kernelILj32ELj8EifPKfEEvT1_S3_T3_PKT2_lPS5_l.has_indirect_call, 0
	.section	.AMDGPU.csdata,"",@progbits
; Kernel info:
; codeLenInByte = 884
; TotalNumSgprs: 27
; NumVgprs: 20
; NumAgprs: 0
; TotalNumVgprs: 20
; ScratchSize: 0
; MemoryBound: 0
; FloatMode: 240
; IeeeMode: 1
; LDSByteSize: 4096 bytes/workgroup (compile time only)
; SGPRBlocks: 3
; VGPRBlocks: 2
; NumSGPRsForWavesPerEU: 27
; NumVGPRsForWavesPerEU: 20
; AccumOffset: 20
; Occupancy: 8
; WaveLimiterHint : 0
; COMPUTE_PGM_RSRC2:SCRATCH_EN: 0
; COMPUTE_PGM_RSRC2:USER_SGPR: 2
; COMPUTE_PGM_RSRC2:TRAP_HANDLER: 0
; COMPUTE_PGM_RSRC2:TGID_X_EN: 1
; COMPUTE_PGM_RSRC2:TGID_Y_EN: 0
; COMPUTE_PGM_RSRC2:TGID_Z_EN: 0
; COMPUTE_PGM_RSRC2:TIDIG_COMP_CNT: 0
; COMPUTE_PGM_RSRC3_GFX90A:ACCUM_OFFSET: 4
; COMPUTE_PGM_RSRC3_GFX90A:TG_SPLIT: 0
	.section	.text._ZN9rocsparseL22dense_transpose_kernelILj32ELj8EiddEEvT1_S1_T3_PKT2_lPS3_l,"axG",@progbits,_ZN9rocsparseL22dense_transpose_kernelILj32ELj8EiddEEvT1_S1_T3_PKT2_lPS3_l,comdat
	.globl	_ZN9rocsparseL22dense_transpose_kernelILj32ELj8EiddEEvT1_S1_T3_PKT2_lPS3_l ; -- Begin function _ZN9rocsparseL22dense_transpose_kernelILj32ELj8EiddEEvT1_S1_T3_PKT2_lPS3_l
	.p2align	8
	.type	_ZN9rocsparseL22dense_transpose_kernelILj32ELj8EiddEEvT1_S1_T3_PKT2_lPS3_l,@function
_ZN9rocsparseL22dense_transpose_kernelILj32ELj8EiddEEvT1_S1_T3_PKT2_lPS3_l: ; @_ZN9rocsparseL22dense_transpose_kernelILj32ELj8EiddEEvT1_S1_T3_PKT2_lPS3_l
; %bb.0:
	s_load_dwordx2 s[10:11], s[0:1], 0x0
	s_waitcnt lgkmcnt(0)
	s_cmp_lt_i32 s11, 1
	s_cbranch_scc1 .LBB2_20
; %bb.1:
	s_load_dwordx8 s[12:19], s[0:1], 0x8
	s_load_dwordx2 s[8:9], s[0:1], 0x28
	v_and_b32_e32 v12, 31, v0
	s_lshl_b32 s0, s2, 5
	v_or_b32_e32 v2, s0, v12
	v_lshrrev_b32_e32 v13, 5, v0
	s_waitcnt lgkmcnt(0)
	v_mov_b32_e32 v0, s14
	v_mov_b32_e32 v1, s15
	v_ashrrev_i32_e32 v3, 31, v2
	v_cmp_gt_i32_e32 vcc, s10, v2
	v_lshl_add_u64 v[0:1], v[2:3], 3, v[0:1]
	v_lshlrev_b32_e32 v2, 3, v12
	v_or_b32_e32 v10, s0, v13
	v_lshl_or_b32 v14, v13, 8, v2
	v_lshlrev_b32_e32 v2, 3, v13
	v_lshl_or_b32 v15, v12, 8, v2
	v_mad_u64_u32 v[2:3], s[2:3], s8, v10, 0
	v_mov_b32_e32 v4, v3
	v_mad_u64_u32 v[4:5], s[2:3], s9, v10, v[4:5]
	v_or_b32_e32 v7, 8, v10
	v_mov_b32_e32 v3, v4
	v_mad_u64_u32 v[4:5], s[4:5], s8, v7, 0
	v_mov_b32_e32 v6, v5
	v_cmp_le_u32_e64 s[2:3], s10, v7
	v_mad_u64_u32 v[6:7], s[4:5], s9, v7, v[6:7]
	v_or_b32_e32 v9, 16, v10
	v_mov_b32_e32 v5, v6
	v_mad_u64_u32 v[6:7], s[6:7], s8, v9, 0
	v_mov_b32_e32 v8, v7
	v_cmp_le_u32_e64 s[4:5], s10, v9
	v_mad_u64_u32 v[8:9], s[6:7], s9, v9, v[8:9]
	v_or_b32_e32 v11, 24, v10
	v_mov_b32_e32 v7, v8
	v_mad_u64_u32 v[8:9], s[14:15], s8, v11, 0
	v_cmp_le_u32_e64 s[0:1], s10, v10
	v_mov_b32_e32 v10, v9
	v_cmp_le_u32_e64 s[6:7], s10, v11
	v_mad_u64_u32 v[10:11], s[8:9], s9, v11, v[10:11]
	v_mov_b32_e32 v9, v10
	s_mov_b32 s10, 0
	s_branch .LBB2_3
.LBB2_2:                                ;   in Loop: Header=BB2_3 Depth=1
	s_or_b64 exec, exec, s[8:9]
	s_add_i32 s10, s10, 32
	s_cmp_lt_i32 s10, s11
	s_cbranch_scc0 .LBB2_20
.LBB2_3:                                ; =>This Inner Loop Header: Depth=1
	v_add_u32_e32 v10, s10, v13
	v_cmp_gt_u32_e64 s[8:9], s11, v10
	s_and_b64 s[14:15], vcc, s[8:9]
	s_barrier
	s_and_saveexec_b64 s[8:9], s[14:15]
	s_cbranch_execz .LBB2_5
; %bb.4:                                ;   in Loop: Header=BB2_3 Depth=1
	v_mad_u64_u32 v[16:17], s[14:15], s16, v10, 0
	v_mov_b32_e32 v18, v17
	v_mad_u64_u32 v[18:19], s[14:15], s17, v10, v[18:19]
	v_mov_b32_e32 v17, v18
	v_lshl_add_u64 v[16:17], v[16:17], 3, v[0:1]
	global_load_dwordx2 v[16:17], v[16:17], off
	s_waitcnt vmcnt(0)
	ds_write_b64 v14, v[16:17]
.LBB2_5:                                ;   in Loop: Header=BB2_3 Depth=1
	s_or_b64 exec, exec, s[8:9]
	s_and_saveexec_b64 s[14:15], vcc
	s_cbranch_execz .LBB2_12
; %bb.6:                                ;   in Loop: Header=BB2_3 Depth=1
	v_add_u32_e32 v11, 8, v10
	v_cmp_gt_u32_e64 s[8:9], s11, v11
	s_and_saveexec_b64 s[20:21], s[8:9]
	s_cbranch_execz .LBB2_8
; %bb.7:                                ;   in Loop: Header=BB2_3 Depth=1
	v_mad_u64_u32 v[16:17], s[8:9], s16, v11, 0
	v_mov_b32_e32 v18, v17
	v_mad_u64_u32 v[18:19], s[8:9], s17, v11, v[18:19]
	v_mov_b32_e32 v17, v18
	v_lshl_add_u64 v[16:17], v[16:17], 3, v[0:1]
	global_load_dwordx2 v[16:17], v[16:17], off
	s_waitcnt vmcnt(0)
	ds_write_b64 v14, v[16:17] offset:2048
.LBB2_8:                                ;   in Loop: Header=BB2_3 Depth=1
	s_or_b64 exec, exec, s[20:21]
	v_add_u32_e32 v11, 16, v10
	v_cmp_gt_u32_e64 s[8:9], s11, v11
	s_and_saveexec_b64 s[20:21], s[8:9]
	s_cbranch_execz .LBB2_10
; %bb.9:                                ;   in Loop: Header=BB2_3 Depth=1
	v_mad_u64_u32 v[16:17], s[8:9], s16, v11, 0
	v_mov_b32_e32 v18, v17
	v_mad_u64_u32 v[18:19], s[8:9], s17, v11, v[18:19]
	v_mov_b32_e32 v17, v18
	v_lshl_add_u64 v[16:17], v[16:17], 3, v[0:1]
	global_load_dwordx2 v[16:17], v[16:17], off
	s_waitcnt vmcnt(0)
	ds_write_b64 v14, v[16:17] offset:4096
.LBB2_10:                               ;   in Loop: Header=BB2_3 Depth=1
	s_or_b64 exec, exec, s[20:21]
	v_add_u32_e32 v10, 24, v10
	v_cmp_gt_u32_e64 s[8:9], s11, v10
	s_and_b64 exec, exec, s[8:9]
	s_cbranch_execz .LBB2_12
; %bb.11:                               ;   in Loop: Header=BB2_3 Depth=1
	v_mad_u64_u32 v[16:17], s[8:9], s16, v10, 0
	v_mov_b32_e32 v18, v17
	v_mad_u64_u32 v[10:11], s[8:9], s17, v10, v[18:19]
	v_mov_b32_e32 v17, v10
	v_lshl_add_u64 v[10:11], v[16:17], 3, v[0:1]
	global_load_dwordx2 v[10:11], v[10:11], off
	s_waitcnt vmcnt(0)
	ds_write_b64 v14, v[10:11] offset:6144
.LBB2_12:                               ;   in Loop: Header=BB2_3 Depth=1
	s_or_b64 exec, exec, s[14:15]
	v_add_u32_e32 v10, s10, v12
	v_cmp_le_i32_e64 s[8:9], s11, v10
	v_ashrrev_i32_e32 v11, 31, v10
	v_lshl_add_u64 v[10:11], v[10:11], 3, s[18:19]
	s_nor_b64 s[20:21], s[8:9], s[0:1]
	s_waitcnt lgkmcnt(0)
	s_barrier
	s_and_saveexec_b64 s[14:15], s[20:21]
	s_cbranch_execnz .LBB2_16
; %bb.13:                               ;   in Loop: Header=BB2_3 Depth=1
	s_or_b64 exec, exec, s[14:15]
	s_nor_b64 s[20:21], s[8:9], s[2:3]
	s_and_saveexec_b64 s[14:15], s[20:21]
	s_cbranch_execnz .LBB2_17
.LBB2_14:                               ;   in Loop: Header=BB2_3 Depth=1
	s_or_b64 exec, exec, s[14:15]
	s_nor_b64 s[20:21], s[8:9], s[4:5]
	s_and_saveexec_b64 s[14:15], s[20:21]
	s_cbranch_execnz .LBB2_18
.LBB2_15:                               ;   in Loop: Header=BB2_3 Depth=1
	s_or_b64 exec, exec, s[14:15]
	s_nor_b64 s[14:15], s[8:9], s[6:7]
	s_and_saveexec_b64 s[8:9], s[14:15]
	s_cbranch_execz .LBB2_2
	s_branch .LBB2_19
.LBB2_16:                               ;   in Loop: Header=BB2_3 Depth=1
	ds_read_b64 v[16:17], v15
	v_lshl_add_u64 v[18:19], v[2:3], 3, v[10:11]
	s_waitcnt lgkmcnt(0)
	v_mul_f64 v[16:17], s[12:13], v[16:17]
	global_store_dwordx2 v[18:19], v[16:17], off
	s_or_b64 exec, exec, s[14:15]
	s_nor_b64 s[20:21], s[8:9], s[2:3]
	s_and_saveexec_b64 s[14:15], s[20:21]
	s_cbranch_execz .LBB2_14
.LBB2_17:                               ;   in Loop: Header=BB2_3 Depth=1
	ds_read_b64 v[16:17], v15 offset:64
	v_lshl_add_u64 v[18:19], v[4:5], 3, v[10:11]
	s_waitcnt lgkmcnt(0)
	v_mul_f64 v[16:17], s[12:13], v[16:17]
	global_store_dwordx2 v[18:19], v[16:17], off
	s_or_b64 exec, exec, s[14:15]
	s_nor_b64 s[20:21], s[8:9], s[4:5]
	s_and_saveexec_b64 s[14:15], s[20:21]
	s_cbranch_execz .LBB2_15
.LBB2_18:                               ;   in Loop: Header=BB2_3 Depth=1
	ds_read_b64 v[16:17], v15 offset:128
	v_lshl_add_u64 v[18:19], v[6:7], 3, v[10:11]
	s_waitcnt lgkmcnt(0)
	v_mul_f64 v[16:17], s[12:13], v[16:17]
	global_store_dwordx2 v[18:19], v[16:17], off
	s_or_b64 exec, exec, s[14:15]
	s_nor_b64 s[14:15], s[8:9], s[6:7]
	s_and_saveexec_b64 s[8:9], s[14:15]
	s_cbranch_execz .LBB2_2
.LBB2_19:                               ;   in Loop: Header=BB2_3 Depth=1
	ds_read_b64 v[16:17], v15 offset:192
	v_lshl_add_u64 v[10:11], v[8:9], 3, v[10:11]
	s_waitcnt lgkmcnt(0)
	v_mul_f64 v[16:17], s[12:13], v[16:17]
	global_store_dwordx2 v[10:11], v[16:17], off
	s_branch .LBB2_2
.LBB2_20:
	s_endpgm
	.section	.rodata,"a",@progbits
	.p2align	6, 0x0
	.amdhsa_kernel _ZN9rocsparseL22dense_transpose_kernelILj32ELj8EiddEEvT1_S1_T3_PKT2_lPS3_l
		.amdhsa_group_segment_fixed_size 8192
		.amdhsa_private_segment_fixed_size 0
		.amdhsa_kernarg_size 48
		.amdhsa_user_sgpr_count 2
		.amdhsa_user_sgpr_dispatch_ptr 0
		.amdhsa_user_sgpr_queue_ptr 0
		.amdhsa_user_sgpr_kernarg_segment_ptr 1
		.amdhsa_user_sgpr_dispatch_id 0
		.amdhsa_user_sgpr_kernarg_preload_length 0
		.amdhsa_user_sgpr_kernarg_preload_offset 0
		.amdhsa_user_sgpr_private_segment_size 0
		.amdhsa_uses_dynamic_stack 0
		.amdhsa_enable_private_segment 0
		.amdhsa_system_sgpr_workgroup_id_x 1
		.amdhsa_system_sgpr_workgroup_id_y 0
		.amdhsa_system_sgpr_workgroup_id_z 0
		.amdhsa_system_sgpr_workgroup_info 0
		.amdhsa_system_vgpr_workitem_id 0
		.amdhsa_next_free_vgpr 20
		.amdhsa_next_free_sgpr 22
		.amdhsa_accum_offset 20
		.amdhsa_reserve_vcc 1
		.amdhsa_float_round_mode_32 0
		.amdhsa_float_round_mode_16_64 0
		.amdhsa_float_denorm_mode_32 3
		.amdhsa_float_denorm_mode_16_64 3
		.amdhsa_dx10_clamp 1
		.amdhsa_ieee_mode 1
		.amdhsa_fp16_overflow 0
		.amdhsa_tg_split 0
		.amdhsa_exception_fp_ieee_invalid_op 0
		.amdhsa_exception_fp_denorm_src 0
		.amdhsa_exception_fp_ieee_div_zero 0
		.amdhsa_exception_fp_ieee_overflow 0
		.amdhsa_exception_fp_ieee_underflow 0
		.amdhsa_exception_fp_ieee_inexact 0
		.amdhsa_exception_int_div_zero 0
	.end_amdhsa_kernel
	.section	.text._ZN9rocsparseL22dense_transpose_kernelILj32ELj8EiddEEvT1_S1_T3_PKT2_lPS3_l,"axG",@progbits,_ZN9rocsparseL22dense_transpose_kernelILj32ELj8EiddEEvT1_S1_T3_PKT2_lPS3_l,comdat
.Lfunc_end2:
	.size	_ZN9rocsparseL22dense_transpose_kernelILj32ELj8EiddEEvT1_S1_T3_PKT2_lPS3_l, .Lfunc_end2-_ZN9rocsparseL22dense_transpose_kernelILj32ELj8EiddEEvT1_S1_T3_PKT2_lPS3_l
                                        ; -- End function
	.set _ZN9rocsparseL22dense_transpose_kernelILj32ELj8EiddEEvT1_S1_T3_PKT2_lPS3_l.num_vgpr, 20
	.set _ZN9rocsparseL22dense_transpose_kernelILj32ELj8EiddEEvT1_S1_T3_PKT2_lPS3_l.num_agpr, 0
	.set _ZN9rocsparseL22dense_transpose_kernelILj32ELj8EiddEEvT1_S1_T3_PKT2_lPS3_l.numbered_sgpr, 22
	.set _ZN9rocsparseL22dense_transpose_kernelILj32ELj8EiddEEvT1_S1_T3_PKT2_lPS3_l.num_named_barrier, 0
	.set _ZN9rocsparseL22dense_transpose_kernelILj32ELj8EiddEEvT1_S1_T3_PKT2_lPS3_l.private_seg_size, 0
	.set _ZN9rocsparseL22dense_transpose_kernelILj32ELj8EiddEEvT1_S1_T3_PKT2_lPS3_l.uses_vcc, 1
	.set _ZN9rocsparseL22dense_transpose_kernelILj32ELj8EiddEEvT1_S1_T3_PKT2_lPS3_l.uses_flat_scratch, 0
	.set _ZN9rocsparseL22dense_transpose_kernelILj32ELj8EiddEEvT1_S1_T3_PKT2_lPS3_l.has_dyn_sized_stack, 0
	.set _ZN9rocsparseL22dense_transpose_kernelILj32ELj8EiddEEvT1_S1_T3_PKT2_lPS3_l.has_recursion, 0
	.set _ZN9rocsparseL22dense_transpose_kernelILj32ELj8EiddEEvT1_S1_T3_PKT2_lPS3_l.has_indirect_call, 0
	.section	.AMDGPU.csdata,"",@progbits
; Kernel info:
; codeLenInByte = 888
; TotalNumSgprs: 28
; NumVgprs: 20
; NumAgprs: 0
; TotalNumVgprs: 20
; ScratchSize: 0
; MemoryBound: 0
; FloatMode: 240
; IeeeMode: 1
; LDSByteSize: 8192 bytes/workgroup (compile time only)
; SGPRBlocks: 3
; VGPRBlocks: 2
; NumSGPRsForWavesPerEU: 28
; NumVGPRsForWavesPerEU: 20
; AccumOffset: 20
; Occupancy: 8
; WaveLimiterHint : 0
; COMPUTE_PGM_RSRC2:SCRATCH_EN: 0
; COMPUTE_PGM_RSRC2:USER_SGPR: 2
; COMPUTE_PGM_RSRC2:TRAP_HANDLER: 0
; COMPUTE_PGM_RSRC2:TGID_X_EN: 1
; COMPUTE_PGM_RSRC2:TGID_Y_EN: 0
; COMPUTE_PGM_RSRC2:TGID_Z_EN: 0
; COMPUTE_PGM_RSRC2:TIDIG_COMP_CNT: 0
; COMPUTE_PGM_RSRC3_GFX90A:ACCUM_OFFSET: 4
; COMPUTE_PGM_RSRC3_GFX90A:TG_SPLIT: 0
	.section	.text._ZN9rocsparseL22dense_transpose_kernelILj32ELj8EidPKdEEvT1_S3_T3_PKT2_lPS5_l,"axG",@progbits,_ZN9rocsparseL22dense_transpose_kernelILj32ELj8EidPKdEEvT1_S3_T3_PKT2_lPS5_l,comdat
	.globl	_ZN9rocsparseL22dense_transpose_kernelILj32ELj8EidPKdEEvT1_S3_T3_PKT2_lPS5_l ; -- Begin function _ZN9rocsparseL22dense_transpose_kernelILj32ELj8EidPKdEEvT1_S3_T3_PKT2_lPS5_l
	.p2align	8
	.type	_ZN9rocsparseL22dense_transpose_kernelILj32ELj8EidPKdEEvT1_S3_T3_PKT2_lPS5_l,@function
_ZN9rocsparseL22dense_transpose_kernelILj32ELj8EidPKdEEvT1_S3_T3_PKT2_lPS5_l: ; @_ZN9rocsparseL22dense_transpose_kernelILj32ELj8EidPKdEEvT1_S3_T3_PKT2_lPS5_l
; %bb.0:
	s_load_dwordx2 s[16:17], s[0:1], 0x0
	s_waitcnt lgkmcnt(0)
	s_cmp_lt_i32 s17, 1
	s_cbranch_scc1 .LBB3_20
; %bb.1:
	s_load_dwordx8 s[8:15], s[0:1], 0x8
	s_load_dwordx2 s[18:19], s[0:1], 0x28
	v_and_b32_e32 v12, 31, v0
	s_lshl_b32 s0, s2, 5
	v_lshrrev_b32_e32 v13, 5, v0
	v_or_b32_e32 v0, s0, v12
	s_waitcnt lgkmcnt(0)
	v_mov_b32_e32 v2, s10
	v_mov_b32_e32 v3, s11
	v_ashrrev_i32_e32 v1, 31, v0
	v_cmp_gt_i32_e32 vcc, s16, v0
	v_lshl_add_u64 v[0:1], v[0:1], 3, v[2:3]
	v_lshlrev_b32_e32 v2, 3, v12
	v_or_b32_e32 v10, s0, v13
	v_lshl_or_b32 v14, v13, 8, v2
	v_lshlrev_b32_e32 v2, 3, v13
	v_lshl_or_b32 v15, v12, 8, v2
	v_mad_u64_u32 v[2:3], s[2:3], s18, v10, 0
	v_mov_b32_e32 v4, v3
	v_mad_u64_u32 v[4:5], s[2:3], s19, v10, v[4:5]
	v_or_b32_e32 v7, 8, v10
	v_mov_b32_e32 v3, v4
	v_mad_u64_u32 v[4:5], s[4:5], s18, v7, 0
	v_mov_b32_e32 v6, v5
	v_cmp_le_u32_e64 s[2:3], s16, v7
	v_mad_u64_u32 v[6:7], s[4:5], s19, v7, v[6:7]
	v_or_b32_e32 v9, 16, v10
	v_mov_b32_e32 v5, v6
	v_mad_u64_u32 v[6:7], s[6:7], s18, v9, 0
	v_mov_b32_e32 v8, v7
	s_load_dwordx2 s[10:11], s[8:9], 0x0
	v_cmp_le_u32_e64 s[4:5], s16, v9
	v_mad_u64_u32 v[8:9], s[6:7], s19, v9, v[8:9]
	v_or_b32_e32 v11, 24, v10
	v_mov_b32_e32 v7, v8
	v_mad_u64_u32 v[8:9], s[8:9], s18, v11, 0
	v_cmp_le_u32_e64 s[0:1], s16, v10
	v_mov_b32_e32 v10, v9
	v_cmp_le_u32_e64 s[6:7], s16, v11
	v_mad_u64_u32 v[10:11], s[8:9], s19, v11, v[10:11]
	v_mov_b32_e32 v9, v10
	s_mov_b32 s16, 0
	s_branch .LBB3_3
.LBB3_2:                                ;   in Loop: Header=BB3_3 Depth=1
	s_or_b64 exec, exec, s[8:9]
	s_add_i32 s16, s16, 32
	s_cmp_lt_i32 s16, s17
	s_cbranch_scc0 .LBB3_20
.LBB3_3:                                ; =>This Inner Loop Header: Depth=1
	v_add_u32_e32 v10, s16, v13
	v_cmp_gt_u32_e64 s[8:9], s17, v10
	s_and_b64 s[18:19], vcc, s[8:9]
	s_waitcnt lgkmcnt(0)
	s_barrier
	s_and_saveexec_b64 s[8:9], s[18:19]
	s_cbranch_execz .LBB3_5
; %bb.4:                                ;   in Loop: Header=BB3_3 Depth=1
	v_mad_u64_u32 v[16:17], s[18:19], s12, v10, 0
	v_mov_b32_e32 v18, v17
	v_mad_u64_u32 v[18:19], s[18:19], s13, v10, v[18:19]
	v_mov_b32_e32 v17, v18
	v_lshl_add_u64 v[16:17], v[16:17], 3, v[0:1]
	global_load_dwordx2 v[16:17], v[16:17], off
	s_waitcnt vmcnt(0)
	ds_write_b64 v14, v[16:17]
.LBB3_5:                                ;   in Loop: Header=BB3_3 Depth=1
	s_or_b64 exec, exec, s[8:9]
	s_and_saveexec_b64 s[18:19], vcc
	s_cbranch_execz .LBB3_12
; %bb.6:                                ;   in Loop: Header=BB3_3 Depth=1
	v_add_u32_e32 v11, 8, v10
	v_cmp_gt_u32_e64 s[8:9], s17, v11
	s_and_saveexec_b64 s[20:21], s[8:9]
	s_cbranch_execz .LBB3_8
; %bb.7:                                ;   in Loop: Header=BB3_3 Depth=1
	v_mad_u64_u32 v[16:17], s[8:9], s12, v11, 0
	v_mov_b32_e32 v18, v17
	v_mad_u64_u32 v[18:19], s[8:9], s13, v11, v[18:19]
	v_mov_b32_e32 v17, v18
	v_lshl_add_u64 v[16:17], v[16:17], 3, v[0:1]
	global_load_dwordx2 v[16:17], v[16:17], off
	s_waitcnt vmcnt(0)
	ds_write_b64 v14, v[16:17] offset:2048
.LBB3_8:                                ;   in Loop: Header=BB3_3 Depth=1
	s_or_b64 exec, exec, s[20:21]
	v_add_u32_e32 v11, 16, v10
	v_cmp_gt_u32_e64 s[8:9], s17, v11
	s_and_saveexec_b64 s[20:21], s[8:9]
	s_cbranch_execz .LBB3_10
; %bb.9:                                ;   in Loop: Header=BB3_3 Depth=1
	v_mad_u64_u32 v[16:17], s[8:9], s12, v11, 0
	v_mov_b32_e32 v18, v17
	v_mad_u64_u32 v[18:19], s[8:9], s13, v11, v[18:19]
	v_mov_b32_e32 v17, v18
	v_lshl_add_u64 v[16:17], v[16:17], 3, v[0:1]
	global_load_dwordx2 v[16:17], v[16:17], off
	s_waitcnt vmcnt(0)
	ds_write_b64 v14, v[16:17] offset:4096
.LBB3_10:                               ;   in Loop: Header=BB3_3 Depth=1
	s_or_b64 exec, exec, s[20:21]
	v_add_u32_e32 v10, 24, v10
	v_cmp_gt_u32_e64 s[8:9], s17, v10
	s_and_b64 exec, exec, s[8:9]
	s_cbranch_execz .LBB3_12
; %bb.11:                               ;   in Loop: Header=BB3_3 Depth=1
	v_mad_u64_u32 v[16:17], s[8:9], s12, v10, 0
	v_mov_b32_e32 v18, v17
	v_mad_u64_u32 v[10:11], s[8:9], s13, v10, v[18:19]
	v_mov_b32_e32 v17, v10
	v_lshl_add_u64 v[10:11], v[16:17], 3, v[0:1]
	global_load_dwordx2 v[10:11], v[10:11], off
	s_waitcnt vmcnt(0)
	ds_write_b64 v14, v[10:11] offset:6144
.LBB3_12:                               ;   in Loop: Header=BB3_3 Depth=1
	s_or_b64 exec, exec, s[18:19]
	v_add_u32_e32 v10, s16, v12
	v_cmp_le_i32_e64 s[8:9], s17, v10
	v_ashrrev_i32_e32 v11, 31, v10
	v_lshl_add_u64 v[10:11], v[10:11], 3, s[14:15]
	s_nor_b64 s[20:21], s[8:9], s[0:1]
	s_waitcnt lgkmcnt(0)
	s_barrier
	s_and_saveexec_b64 s[18:19], s[20:21]
	s_cbranch_execnz .LBB3_16
; %bb.13:                               ;   in Loop: Header=BB3_3 Depth=1
	s_or_b64 exec, exec, s[18:19]
	s_nor_b64 s[20:21], s[8:9], s[2:3]
	s_and_saveexec_b64 s[18:19], s[20:21]
	s_cbranch_execnz .LBB3_17
.LBB3_14:                               ;   in Loop: Header=BB3_3 Depth=1
	s_or_b64 exec, exec, s[18:19]
	s_nor_b64 s[20:21], s[8:9], s[4:5]
	s_and_saveexec_b64 s[18:19], s[20:21]
	s_cbranch_execnz .LBB3_18
.LBB3_15:                               ;   in Loop: Header=BB3_3 Depth=1
	s_or_b64 exec, exec, s[18:19]
	s_nor_b64 s[18:19], s[8:9], s[6:7]
	s_and_saveexec_b64 s[8:9], s[18:19]
	s_cbranch_execz .LBB3_2
	s_branch .LBB3_19
.LBB3_16:                               ;   in Loop: Header=BB3_3 Depth=1
	ds_read_b64 v[16:17], v15
	v_lshl_add_u64 v[18:19], v[2:3], 3, v[10:11]
	s_waitcnt lgkmcnt(0)
	v_mul_f64 v[16:17], s[10:11], v[16:17]
	global_store_dwordx2 v[18:19], v[16:17], off
	s_or_b64 exec, exec, s[18:19]
	s_nor_b64 s[20:21], s[8:9], s[2:3]
	s_and_saveexec_b64 s[18:19], s[20:21]
	s_cbranch_execz .LBB3_14
.LBB3_17:                               ;   in Loop: Header=BB3_3 Depth=1
	ds_read_b64 v[16:17], v15 offset:64
	v_lshl_add_u64 v[18:19], v[4:5], 3, v[10:11]
	s_waitcnt lgkmcnt(0)
	v_mul_f64 v[16:17], s[10:11], v[16:17]
	global_store_dwordx2 v[18:19], v[16:17], off
	s_or_b64 exec, exec, s[18:19]
	s_nor_b64 s[20:21], s[8:9], s[4:5]
	s_and_saveexec_b64 s[18:19], s[20:21]
	s_cbranch_execz .LBB3_15
.LBB3_18:                               ;   in Loop: Header=BB3_3 Depth=1
	ds_read_b64 v[16:17], v15 offset:128
	v_lshl_add_u64 v[18:19], v[6:7], 3, v[10:11]
	s_waitcnt lgkmcnt(0)
	v_mul_f64 v[16:17], s[10:11], v[16:17]
	global_store_dwordx2 v[18:19], v[16:17], off
	s_or_b64 exec, exec, s[18:19]
	s_nor_b64 s[18:19], s[8:9], s[6:7]
	s_and_saveexec_b64 s[8:9], s[18:19]
	s_cbranch_execz .LBB3_2
.LBB3_19:                               ;   in Loop: Header=BB3_3 Depth=1
	ds_read_b64 v[16:17], v15 offset:192
	v_lshl_add_u64 v[10:11], v[8:9], 3, v[10:11]
	s_waitcnt lgkmcnt(0)
	v_mul_f64 v[16:17], s[10:11], v[16:17]
	global_store_dwordx2 v[10:11], v[16:17], off
	s_branch .LBB3_2
.LBB3_20:
	s_endpgm
	.section	.rodata,"a",@progbits
	.p2align	6, 0x0
	.amdhsa_kernel _ZN9rocsparseL22dense_transpose_kernelILj32ELj8EidPKdEEvT1_S3_T3_PKT2_lPS5_l
		.amdhsa_group_segment_fixed_size 8192
		.amdhsa_private_segment_fixed_size 0
		.amdhsa_kernarg_size 48
		.amdhsa_user_sgpr_count 2
		.amdhsa_user_sgpr_dispatch_ptr 0
		.amdhsa_user_sgpr_queue_ptr 0
		.amdhsa_user_sgpr_kernarg_segment_ptr 1
		.amdhsa_user_sgpr_dispatch_id 0
		.amdhsa_user_sgpr_kernarg_preload_length 0
		.amdhsa_user_sgpr_kernarg_preload_offset 0
		.amdhsa_user_sgpr_private_segment_size 0
		.amdhsa_uses_dynamic_stack 0
		.amdhsa_enable_private_segment 0
		.amdhsa_system_sgpr_workgroup_id_x 1
		.amdhsa_system_sgpr_workgroup_id_y 0
		.amdhsa_system_sgpr_workgroup_id_z 0
		.amdhsa_system_sgpr_workgroup_info 0
		.amdhsa_system_vgpr_workitem_id 0
		.amdhsa_next_free_vgpr 20
		.amdhsa_next_free_sgpr 22
		.amdhsa_accum_offset 20
		.amdhsa_reserve_vcc 1
		.amdhsa_float_round_mode_32 0
		.amdhsa_float_round_mode_16_64 0
		.amdhsa_float_denorm_mode_32 3
		.amdhsa_float_denorm_mode_16_64 3
		.amdhsa_dx10_clamp 1
		.amdhsa_ieee_mode 1
		.amdhsa_fp16_overflow 0
		.amdhsa_tg_split 0
		.amdhsa_exception_fp_ieee_invalid_op 0
		.amdhsa_exception_fp_denorm_src 0
		.amdhsa_exception_fp_ieee_div_zero 0
		.amdhsa_exception_fp_ieee_overflow 0
		.amdhsa_exception_fp_ieee_underflow 0
		.amdhsa_exception_fp_ieee_inexact 0
		.amdhsa_exception_int_div_zero 0
	.end_amdhsa_kernel
	.section	.text._ZN9rocsparseL22dense_transpose_kernelILj32ELj8EidPKdEEvT1_S3_T3_PKT2_lPS5_l,"axG",@progbits,_ZN9rocsparseL22dense_transpose_kernelILj32ELj8EidPKdEEvT1_S3_T3_PKT2_lPS5_l,comdat
.Lfunc_end3:
	.size	_ZN9rocsparseL22dense_transpose_kernelILj32ELj8EidPKdEEvT1_S3_T3_PKT2_lPS5_l, .Lfunc_end3-_ZN9rocsparseL22dense_transpose_kernelILj32ELj8EidPKdEEvT1_S3_T3_PKT2_lPS5_l
                                        ; -- End function
	.set _ZN9rocsparseL22dense_transpose_kernelILj32ELj8EidPKdEEvT1_S3_T3_PKT2_lPS5_l.num_vgpr, 20
	.set _ZN9rocsparseL22dense_transpose_kernelILj32ELj8EidPKdEEvT1_S3_T3_PKT2_lPS5_l.num_agpr, 0
	.set _ZN9rocsparseL22dense_transpose_kernelILj32ELj8EidPKdEEvT1_S3_T3_PKT2_lPS5_l.numbered_sgpr, 22
	.set _ZN9rocsparseL22dense_transpose_kernelILj32ELj8EidPKdEEvT1_S3_T3_PKT2_lPS5_l.num_named_barrier, 0
	.set _ZN9rocsparseL22dense_transpose_kernelILj32ELj8EidPKdEEvT1_S3_T3_PKT2_lPS5_l.private_seg_size, 0
	.set _ZN9rocsparseL22dense_transpose_kernelILj32ELj8EidPKdEEvT1_S3_T3_PKT2_lPS5_l.uses_vcc, 1
	.set _ZN9rocsparseL22dense_transpose_kernelILj32ELj8EidPKdEEvT1_S3_T3_PKT2_lPS5_l.uses_flat_scratch, 0
	.set _ZN9rocsparseL22dense_transpose_kernelILj32ELj8EidPKdEEvT1_S3_T3_PKT2_lPS5_l.has_dyn_sized_stack, 0
	.set _ZN9rocsparseL22dense_transpose_kernelILj32ELj8EidPKdEEvT1_S3_T3_PKT2_lPS5_l.has_recursion, 0
	.set _ZN9rocsparseL22dense_transpose_kernelILj32ELj8EidPKdEEvT1_S3_T3_PKT2_lPS5_l.has_indirect_call, 0
	.section	.AMDGPU.csdata,"",@progbits
; Kernel info:
; codeLenInByte = 900
; TotalNumSgprs: 28
; NumVgprs: 20
; NumAgprs: 0
; TotalNumVgprs: 20
; ScratchSize: 0
; MemoryBound: 0
; FloatMode: 240
; IeeeMode: 1
; LDSByteSize: 8192 bytes/workgroup (compile time only)
; SGPRBlocks: 3
; VGPRBlocks: 2
; NumSGPRsForWavesPerEU: 28
; NumVGPRsForWavesPerEU: 20
; AccumOffset: 20
; Occupancy: 8
; WaveLimiterHint : 0
; COMPUTE_PGM_RSRC2:SCRATCH_EN: 0
; COMPUTE_PGM_RSRC2:USER_SGPR: 2
; COMPUTE_PGM_RSRC2:TRAP_HANDLER: 0
; COMPUTE_PGM_RSRC2:TGID_X_EN: 1
; COMPUTE_PGM_RSRC2:TGID_Y_EN: 0
; COMPUTE_PGM_RSRC2:TGID_Z_EN: 0
; COMPUTE_PGM_RSRC2:TIDIG_COMP_CNT: 0
; COMPUTE_PGM_RSRC3_GFX90A:ACCUM_OFFSET: 4
; COMPUTE_PGM_RSRC3_GFX90A:TG_SPLIT: 0
	.section	.text._ZN9rocsparseL22dense_transpose_kernelILj32ELj8Ei21rocsparse_complex_numIfES2_EEvT1_S3_T3_PKT2_lPS5_l,"axG",@progbits,_ZN9rocsparseL22dense_transpose_kernelILj32ELj8Ei21rocsparse_complex_numIfES2_EEvT1_S3_T3_PKT2_lPS5_l,comdat
	.globl	_ZN9rocsparseL22dense_transpose_kernelILj32ELj8Ei21rocsparse_complex_numIfES2_EEvT1_S3_T3_PKT2_lPS5_l ; -- Begin function _ZN9rocsparseL22dense_transpose_kernelILj32ELj8Ei21rocsparse_complex_numIfES2_EEvT1_S3_T3_PKT2_lPS5_l
	.p2align	8
	.type	_ZN9rocsparseL22dense_transpose_kernelILj32ELj8Ei21rocsparse_complex_numIfES2_EEvT1_S3_T3_PKT2_lPS5_l,@function
_ZN9rocsparseL22dense_transpose_kernelILj32ELj8Ei21rocsparse_complex_numIfES2_EEvT1_S3_T3_PKT2_lPS5_l: ; @_ZN9rocsparseL22dense_transpose_kernelILj32ELj8Ei21rocsparse_complex_numIfES2_EEvT1_S3_T3_PKT2_lPS5_l
; %bb.0:
	s_load_dwordx4 s[16:19], s[0:1], 0x0
	s_waitcnt lgkmcnt(0)
	s_cmp_lt_i32 s17, 1
	s_cbranch_scc1 .LBB4_20
; %bb.1:
	s_load_dwordx8 s[8:15], s[0:1], 0x10
	v_and_b32_e32 v12, 31, v0
	s_lshl_b32 s0, s2, 5
	v_or_b32_e32 v2, s0, v12
	v_lshrrev_b32_e32 v13, 5, v0
	s_waitcnt lgkmcnt(0)
	v_mov_b32_e32 v0, s8
	v_mov_b32_e32 v1, s9
	v_ashrrev_i32_e32 v3, 31, v2
	v_cmp_gt_i32_e32 vcc, s16, v2
	v_lshl_add_u64 v[0:1], v[2:3], 3, v[0:1]
	v_lshlrev_b32_e32 v2, 3, v12
	v_or_b32_e32 v10, s0, v13
	v_lshl_or_b32 v14, v13, 8, v2
	v_lshlrev_b32_e32 v2, 3, v13
	v_lshl_or_b32 v15, v12, 8, v2
	v_mad_u64_u32 v[2:3], s[2:3], s14, v10, 0
	v_mov_b32_e32 v4, v3
	v_mad_u64_u32 v[4:5], s[2:3], s15, v10, v[4:5]
	v_or_b32_e32 v7, 8, v10
	v_mov_b32_e32 v3, v4
	v_mad_u64_u32 v[4:5], s[4:5], s14, v7, 0
	v_mov_b32_e32 v6, v5
	v_cmp_le_u32_e64 s[2:3], s16, v7
	v_mad_u64_u32 v[6:7], s[4:5], s15, v7, v[6:7]
	v_or_b32_e32 v9, 16, v10
	v_mov_b32_e32 v5, v6
	v_mad_u64_u32 v[6:7], s[6:7], s14, v9, 0
	v_mov_b32_e32 v8, v7
	v_cmp_le_u32_e64 s[4:5], s16, v9
	v_mad_u64_u32 v[8:9], s[6:7], s15, v9, v[8:9]
	v_or_b32_e32 v11, 24, v10
	v_mov_b32_e32 v7, v8
	v_mad_u64_u32 v[8:9], s[8:9], s14, v11, 0
	v_cmp_le_u32_e64 s[0:1], s16, v10
	v_mov_b32_e32 v10, v9
	v_cmp_le_u32_e64 s[6:7], s16, v11
	v_mad_u64_u32 v[10:11], s[8:9], s15, v11, v[10:11]
	s_xor_b32 s20, s19, 0x80000000
	v_mov_b32_e32 v9, v10
	s_mov_b32 s21, s18
	s_mov_b32 s16, 0
	s_branch .LBB4_3
.LBB4_2:                                ;   in Loop: Header=BB4_3 Depth=1
	s_or_b64 exec, exec, s[8:9]
	s_add_i32 s16, s16, 32
	s_cmp_lt_i32 s16, s17
	s_cbranch_scc0 .LBB4_20
.LBB4_3:                                ; =>This Inner Loop Header: Depth=1
	v_add_u32_e32 v10, s16, v13
	v_cmp_gt_u32_e64 s[8:9], s17, v10
	s_and_b64 s[14:15], vcc, s[8:9]
	s_barrier
	s_and_saveexec_b64 s[8:9], s[14:15]
	s_cbranch_execz .LBB4_5
; %bb.4:                                ;   in Loop: Header=BB4_3 Depth=1
	v_mad_u64_u32 v[16:17], s[14:15], s10, v10, 0
	v_mov_b32_e32 v18, v17
	v_mad_u64_u32 v[18:19], s[14:15], s11, v10, v[18:19]
	v_mov_b32_e32 v17, v18
	v_lshl_add_u64 v[16:17], v[16:17], 3, v[0:1]
	global_load_dwordx2 v[16:17], v[16:17], off
	s_waitcnt vmcnt(0)
	ds_write_b64 v14, v[16:17]
.LBB4_5:                                ;   in Loop: Header=BB4_3 Depth=1
	s_or_b64 exec, exec, s[8:9]
	s_and_saveexec_b64 s[14:15], vcc
	s_cbranch_execz .LBB4_12
; %bb.6:                                ;   in Loop: Header=BB4_3 Depth=1
	v_add_u32_e32 v11, 8, v10
	v_cmp_gt_u32_e64 s[8:9], s17, v11
	s_and_saveexec_b64 s[22:23], s[8:9]
	s_cbranch_execz .LBB4_8
; %bb.7:                                ;   in Loop: Header=BB4_3 Depth=1
	v_mad_u64_u32 v[16:17], s[8:9], s10, v11, 0
	v_mov_b32_e32 v18, v17
	v_mad_u64_u32 v[18:19], s[8:9], s11, v11, v[18:19]
	v_mov_b32_e32 v17, v18
	v_lshl_add_u64 v[16:17], v[16:17], 3, v[0:1]
	global_load_dwordx2 v[16:17], v[16:17], off
	s_waitcnt vmcnt(0)
	ds_write_b64 v14, v[16:17] offset:2048
.LBB4_8:                                ;   in Loop: Header=BB4_3 Depth=1
	s_or_b64 exec, exec, s[22:23]
	v_add_u32_e32 v11, 16, v10
	v_cmp_gt_u32_e64 s[8:9], s17, v11
	s_and_saveexec_b64 s[22:23], s[8:9]
	s_cbranch_execz .LBB4_10
; %bb.9:                                ;   in Loop: Header=BB4_3 Depth=1
	v_mad_u64_u32 v[16:17], s[8:9], s10, v11, 0
	v_mov_b32_e32 v18, v17
	v_mad_u64_u32 v[18:19], s[8:9], s11, v11, v[18:19]
	v_mov_b32_e32 v17, v18
	v_lshl_add_u64 v[16:17], v[16:17], 3, v[0:1]
	global_load_dwordx2 v[16:17], v[16:17], off
	s_waitcnt vmcnt(0)
	ds_write_b64 v14, v[16:17] offset:4096
.LBB4_10:                               ;   in Loop: Header=BB4_3 Depth=1
	s_or_b64 exec, exec, s[22:23]
	v_add_u32_e32 v10, 24, v10
	v_cmp_gt_u32_e64 s[8:9], s17, v10
	s_and_b64 exec, exec, s[8:9]
	s_cbranch_execz .LBB4_12
; %bb.11:                               ;   in Loop: Header=BB4_3 Depth=1
	v_mad_u64_u32 v[16:17], s[8:9], s10, v10, 0
	v_mov_b32_e32 v18, v17
	v_mad_u64_u32 v[10:11], s[8:9], s11, v10, v[18:19]
	v_mov_b32_e32 v17, v10
	v_lshl_add_u64 v[10:11], v[16:17], 3, v[0:1]
	global_load_dwordx2 v[10:11], v[10:11], off
	s_waitcnt vmcnt(0)
	ds_write_b64 v14, v[10:11] offset:6144
.LBB4_12:                               ;   in Loop: Header=BB4_3 Depth=1
	s_or_b64 exec, exec, s[14:15]
	v_add_u32_e32 v10, s16, v12
	v_cmp_le_i32_e64 s[8:9], s17, v10
	v_ashrrev_i32_e32 v11, 31, v10
	v_lshl_add_u64 v[10:11], v[10:11], 3, s[12:13]
	s_nor_b64 s[22:23], s[8:9], s[0:1]
	s_waitcnt lgkmcnt(0)
	s_barrier
	s_and_saveexec_b64 s[14:15], s[22:23]
	s_cbranch_execnz .LBB4_16
; %bb.13:                               ;   in Loop: Header=BB4_3 Depth=1
	s_or_b64 exec, exec, s[14:15]
	s_nor_b64 s[22:23], s[8:9], s[2:3]
	s_and_saveexec_b64 s[14:15], s[22:23]
	s_cbranch_execnz .LBB4_17
.LBB4_14:                               ;   in Loop: Header=BB4_3 Depth=1
	s_or_b64 exec, exec, s[14:15]
	s_nor_b64 s[22:23], s[8:9], s[4:5]
	s_and_saveexec_b64 s[14:15], s[22:23]
	s_cbranch_execnz .LBB4_18
.LBB4_15:                               ;   in Loop: Header=BB4_3 Depth=1
	s_or_b64 exec, exec, s[14:15]
	s_nor_b64 s[14:15], s[8:9], s[6:7]
	s_and_saveexec_b64 s[8:9], s[14:15]
	s_cbranch_execz .LBB4_2
	s_branch .LBB4_19
.LBB4_16:                               ;   in Loop: Header=BB4_3 Depth=1
	ds_read_b64 v[16:17], v15
	v_lshl_add_u64 v[18:19], v[2:3], 3, v[10:11]
	s_waitcnt lgkmcnt(0)
	v_pk_mul_f32 v[20:21], v[16:17], s[20:21] op_sel:[1,0]
	s_nop 0
	v_pk_fma_f32 v[16:17], s[18:19], v[16:17], v[20:21] op_sel_hi:[1,0,1]
	global_store_dwordx2 v[18:19], v[16:17], off
	s_or_b64 exec, exec, s[14:15]
	s_nor_b64 s[22:23], s[8:9], s[2:3]
	s_and_saveexec_b64 s[14:15], s[22:23]
	s_cbranch_execz .LBB4_14
.LBB4_17:                               ;   in Loop: Header=BB4_3 Depth=1
	ds_read_b64 v[16:17], v15 offset:64
	v_lshl_add_u64 v[18:19], v[4:5], 3, v[10:11]
	s_waitcnt lgkmcnt(0)
	v_pk_mul_f32 v[20:21], v[16:17], s[20:21] op_sel:[1,0]
	s_nop 0
	v_pk_fma_f32 v[16:17], s[18:19], v[16:17], v[20:21] op_sel_hi:[1,0,1]
	global_store_dwordx2 v[18:19], v[16:17], off
	s_or_b64 exec, exec, s[14:15]
	s_nor_b64 s[22:23], s[8:9], s[4:5]
	s_and_saveexec_b64 s[14:15], s[22:23]
	s_cbranch_execz .LBB4_15
.LBB4_18:                               ;   in Loop: Header=BB4_3 Depth=1
	ds_read_b64 v[16:17], v15 offset:128
	v_lshl_add_u64 v[18:19], v[6:7], 3, v[10:11]
	s_waitcnt lgkmcnt(0)
	v_pk_mul_f32 v[20:21], v[16:17], s[20:21] op_sel:[1,0]
	s_nop 0
	v_pk_fma_f32 v[16:17], s[18:19], v[16:17], v[20:21] op_sel_hi:[1,0,1]
	global_store_dwordx2 v[18:19], v[16:17], off
	s_or_b64 exec, exec, s[14:15]
	s_nor_b64 s[14:15], s[8:9], s[6:7]
	s_and_saveexec_b64 s[8:9], s[14:15]
	s_cbranch_execz .LBB4_2
.LBB4_19:                               ;   in Loop: Header=BB4_3 Depth=1
	ds_read_b64 v[16:17], v15 offset:192
	v_lshl_add_u64 v[10:11], v[8:9], 3, v[10:11]
	s_waitcnt lgkmcnt(0)
	v_pk_mul_f32 v[18:19], v[16:17], s[20:21] op_sel:[1,0]
	s_nop 0
	v_pk_fma_f32 v[16:17], s[18:19], v[16:17], v[18:19] op_sel_hi:[1,0,1]
	global_store_dwordx2 v[10:11], v[16:17], off
	s_branch .LBB4_2
.LBB4_20:
	s_endpgm
	.section	.rodata,"a",@progbits
	.p2align	6, 0x0
	.amdhsa_kernel _ZN9rocsparseL22dense_transpose_kernelILj32ELj8Ei21rocsparse_complex_numIfES2_EEvT1_S3_T3_PKT2_lPS5_l
		.amdhsa_group_segment_fixed_size 8192
		.amdhsa_private_segment_fixed_size 0
		.amdhsa_kernarg_size 48
		.amdhsa_user_sgpr_count 2
		.amdhsa_user_sgpr_dispatch_ptr 0
		.amdhsa_user_sgpr_queue_ptr 0
		.amdhsa_user_sgpr_kernarg_segment_ptr 1
		.amdhsa_user_sgpr_dispatch_id 0
		.amdhsa_user_sgpr_kernarg_preload_length 0
		.amdhsa_user_sgpr_kernarg_preload_offset 0
		.amdhsa_user_sgpr_private_segment_size 0
		.amdhsa_uses_dynamic_stack 0
		.amdhsa_enable_private_segment 0
		.amdhsa_system_sgpr_workgroup_id_x 1
		.amdhsa_system_sgpr_workgroup_id_y 0
		.amdhsa_system_sgpr_workgroup_id_z 0
		.amdhsa_system_sgpr_workgroup_info 0
		.amdhsa_system_vgpr_workitem_id 0
		.amdhsa_next_free_vgpr 22
		.amdhsa_next_free_sgpr 24
		.amdhsa_accum_offset 24
		.amdhsa_reserve_vcc 1
		.amdhsa_float_round_mode_32 0
		.amdhsa_float_round_mode_16_64 0
		.amdhsa_float_denorm_mode_32 3
		.amdhsa_float_denorm_mode_16_64 3
		.amdhsa_dx10_clamp 1
		.amdhsa_ieee_mode 1
		.amdhsa_fp16_overflow 0
		.amdhsa_tg_split 0
		.amdhsa_exception_fp_ieee_invalid_op 0
		.amdhsa_exception_fp_denorm_src 0
		.amdhsa_exception_fp_ieee_div_zero 0
		.amdhsa_exception_fp_ieee_overflow 0
		.amdhsa_exception_fp_ieee_underflow 0
		.amdhsa_exception_fp_ieee_inexact 0
		.amdhsa_exception_int_div_zero 0
	.end_amdhsa_kernel
	.section	.text._ZN9rocsparseL22dense_transpose_kernelILj32ELj8Ei21rocsparse_complex_numIfES2_EEvT1_S3_T3_PKT2_lPS5_l,"axG",@progbits,_ZN9rocsparseL22dense_transpose_kernelILj32ELj8Ei21rocsparse_complex_numIfES2_EEvT1_S3_T3_PKT2_lPS5_l,comdat
.Lfunc_end4:
	.size	_ZN9rocsparseL22dense_transpose_kernelILj32ELj8Ei21rocsparse_complex_numIfES2_EEvT1_S3_T3_PKT2_lPS5_l, .Lfunc_end4-_ZN9rocsparseL22dense_transpose_kernelILj32ELj8Ei21rocsparse_complex_numIfES2_EEvT1_S3_T3_PKT2_lPS5_l
                                        ; -- End function
	.set _ZN9rocsparseL22dense_transpose_kernelILj32ELj8Ei21rocsparse_complex_numIfES2_EEvT1_S3_T3_PKT2_lPS5_l.num_vgpr, 22
	.set _ZN9rocsparseL22dense_transpose_kernelILj32ELj8Ei21rocsparse_complex_numIfES2_EEvT1_S3_T3_PKT2_lPS5_l.num_agpr, 0
	.set _ZN9rocsparseL22dense_transpose_kernelILj32ELj8Ei21rocsparse_complex_numIfES2_EEvT1_S3_T3_PKT2_lPS5_l.numbered_sgpr, 24
	.set _ZN9rocsparseL22dense_transpose_kernelILj32ELj8Ei21rocsparse_complex_numIfES2_EEvT1_S3_T3_PKT2_lPS5_l.num_named_barrier, 0
	.set _ZN9rocsparseL22dense_transpose_kernelILj32ELj8Ei21rocsparse_complex_numIfES2_EEvT1_S3_T3_PKT2_lPS5_l.private_seg_size, 0
	.set _ZN9rocsparseL22dense_transpose_kernelILj32ELj8Ei21rocsparse_complex_numIfES2_EEvT1_S3_T3_PKT2_lPS5_l.uses_vcc, 1
	.set _ZN9rocsparseL22dense_transpose_kernelILj32ELj8Ei21rocsparse_complex_numIfES2_EEvT1_S3_T3_PKT2_lPS5_l.uses_flat_scratch, 0
	.set _ZN9rocsparseL22dense_transpose_kernelILj32ELj8Ei21rocsparse_complex_numIfES2_EEvT1_S3_T3_PKT2_lPS5_l.has_dyn_sized_stack, 0
	.set _ZN9rocsparseL22dense_transpose_kernelILj32ELj8Ei21rocsparse_complex_numIfES2_EEvT1_S3_T3_PKT2_lPS5_l.has_recursion, 0
	.set _ZN9rocsparseL22dense_transpose_kernelILj32ELj8Ei21rocsparse_complex_numIfES2_EEvT1_S3_T3_PKT2_lPS5_l.has_indirect_call, 0
	.section	.AMDGPU.csdata,"",@progbits
; Kernel info:
; codeLenInByte = 940
; TotalNumSgprs: 30
; NumVgprs: 22
; NumAgprs: 0
; TotalNumVgprs: 22
; ScratchSize: 0
; MemoryBound: 0
; FloatMode: 240
; IeeeMode: 1
; LDSByteSize: 8192 bytes/workgroup (compile time only)
; SGPRBlocks: 3
; VGPRBlocks: 2
; NumSGPRsForWavesPerEU: 30
; NumVGPRsForWavesPerEU: 22
; AccumOffset: 24
; Occupancy: 8
; WaveLimiterHint : 0
; COMPUTE_PGM_RSRC2:SCRATCH_EN: 0
; COMPUTE_PGM_RSRC2:USER_SGPR: 2
; COMPUTE_PGM_RSRC2:TRAP_HANDLER: 0
; COMPUTE_PGM_RSRC2:TGID_X_EN: 1
; COMPUTE_PGM_RSRC2:TGID_Y_EN: 0
; COMPUTE_PGM_RSRC2:TGID_Z_EN: 0
; COMPUTE_PGM_RSRC2:TIDIG_COMP_CNT: 0
; COMPUTE_PGM_RSRC3_GFX90A:ACCUM_OFFSET: 5
; COMPUTE_PGM_RSRC3_GFX90A:TG_SPLIT: 0
	.section	.text._ZN9rocsparseL22dense_transpose_kernelILj32ELj8Ei21rocsparse_complex_numIfEPKS2_EEvT1_S5_T3_PKT2_lPS7_l,"axG",@progbits,_ZN9rocsparseL22dense_transpose_kernelILj32ELj8Ei21rocsparse_complex_numIfEPKS2_EEvT1_S5_T3_PKT2_lPS7_l,comdat
	.globl	_ZN9rocsparseL22dense_transpose_kernelILj32ELj8Ei21rocsparse_complex_numIfEPKS2_EEvT1_S5_T3_PKT2_lPS7_l ; -- Begin function _ZN9rocsparseL22dense_transpose_kernelILj32ELj8Ei21rocsparse_complex_numIfEPKS2_EEvT1_S5_T3_PKT2_lPS7_l
	.p2align	8
	.type	_ZN9rocsparseL22dense_transpose_kernelILj32ELj8Ei21rocsparse_complex_numIfEPKS2_EEvT1_S5_T3_PKT2_lPS7_l,@function
_ZN9rocsparseL22dense_transpose_kernelILj32ELj8Ei21rocsparse_complex_numIfEPKS2_EEvT1_S5_T3_PKT2_lPS7_l: ; @_ZN9rocsparseL22dense_transpose_kernelILj32ELj8Ei21rocsparse_complex_numIfEPKS2_EEvT1_S5_T3_PKT2_lPS7_l
; %bb.0:
	s_load_dwordx2 s[16:17], s[0:1], 0x0
	s_waitcnt lgkmcnt(0)
	s_cmp_lt_i32 s17, 1
	s_cbranch_scc1 .LBB5_20
; %bb.1:
	s_load_dwordx8 s[8:15], s[0:1], 0x8
	s_load_dwordx2 s[20:21], s[0:1], 0x28
	v_and_b32_e32 v12, 31, v0
	s_lshl_b32 s0, s2, 5
	v_lshrrev_b32_e32 v13, 5, v0
	v_or_b32_e32 v0, s0, v12
	s_waitcnt lgkmcnt(0)
	v_mov_b32_e32 v2, s10
	v_mov_b32_e32 v3, s11
	v_ashrrev_i32_e32 v1, 31, v0
	v_cmp_gt_i32_e32 vcc, s16, v0
	v_lshl_add_u64 v[0:1], v[0:1], 3, v[2:3]
	v_lshlrev_b32_e32 v2, 3, v12
	v_or_b32_e32 v10, s0, v13
	v_lshl_or_b32 v14, v13, 8, v2
	v_lshlrev_b32_e32 v2, 3, v13
	v_lshl_or_b32 v15, v12, 8, v2
	v_mad_u64_u32 v[2:3], s[2:3], s20, v10, 0
	v_mov_b32_e32 v4, v3
	v_mad_u64_u32 v[4:5], s[2:3], s21, v10, v[4:5]
	v_or_b32_e32 v7, 8, v10
	v_mov_b32_e32 v3, v4
	v_mad_u64_u32 v[4:5], s[4:5], s20, v7, 0
	v_mov_b32_e32 v6, v5
	v_cmp_le_u32_e64 s[2:3], s16, v7
	v_mad_u64_u32 v[6:7], s[4:5], s21, v7, v[6:7]
	v_or_b32_e32 v9, 16, v10
	v_mov_b32_e32 v5, v6
	v_mad_u64_u32 v[6:7], s[6:7], s20, v9, 0
	s_load_dwordx2 s[10:11], s[8:9], 0x0
	v_mov_b32_e32 v8, v7
	v_cmp_le_u32_e64 s[4:5], s16, v9
	v_mad_u64_u32 v[8:9], s[6:7], s21, v9, v[8:9]
	v_or_b32_e32 v11, 24, v10
	v_mov_b32_e32 v7, v8
	v_mad_u64_u32 v[8:9], s[8:9], s20, v11, 0
	v_cmp_le_u32_e64 s[0:1], s16, v10
	v_mov_b32_e32 v10, v9
	v_cmp_le_u32_e64 s[6:7], s16, v11
	v_mad_u64_u32 v[10:11], s[8:9], s21, v11, v[10:11]
	s_waitcnt lgkmcnt(0)
	s_xor_b32 s18, s11, 0x80000000
	v_mov_b32_e32 v9, v10
	s_mov_b32 s19, s10
	s_mov_b32 s16, 0
	s_branch .LBB5_3
.LBB5_2:                                ;   in Loop: Header=BB5_3 Depth=1
	s_or_b64 exec, exec, s[8:9]
	s_add_i32 s16, s16, 32
	s_cmp_lt_i32 s16, s17
	s_cbranch_scc0 .LBB5_20
.LBB5_3:                                ; =>This Inner Loop Header: Depth=1
	v_add_u32_e32 v10, s16, v13
	v_cmp_gt_u32_e64 s[8:9], s17, v10
	s_and_b64 s[20:21], vcc, s[8:9]
	s_barrier
	s_and_saveexec_b64 s[8:9], s[20:21]
	s_cbranch_execz .LBB5_5
; %bb.4:                                ;   in Loop: Header=BB5_3 Depth=1
	v_mad_u64_u32 v[16:17], s[20:21], s12, v10, 0
	v_mov_b32_e32 v18, v17
	v_mad_u64_u32 v[18:19], s[20:21], s13, v10, v[18:19]
	v_mov_b32_e32 v17, v18
	v_lshl_add_u64 v[16:17], v[16:17], 3, v[0:1]
	global_load_dwordx2 v[16:17], v[16:17], off
	s_waitcnt vmcnt(0)
	ds_write_b64 v14, v[16:17]
.LBB5_5:                                ;   in Loop: Header=BB5_3 Depth=1
	s_or_b64 exec, exec, s[8:9]
	s_and_saveexec_b64 s[20:21], vcc
	s_cbranch_execz .LBB5_12
; %bb.6:                                ;   in Loop: Header=BB5_3 Depth=1
	v_add_u32_e32 v11, 8, v10
	v_cmp_gt_u32_e64 s[8:9], s17, v11
	s_and_saveexec_b64 s[22:23], s[8:9]
	s_cbranch_execz .LBB5_8
; %bb.7:                                ;   in Loop: Header=BB5_3 Depth=1
	v_mad_u64_u32 v[16:17], s[8:9], s12, v11, 0
	v_mov_b32_e32 v18, v17
	v_mad_u64_u32 v[18:19], s[8:9], s13, v11, v[18:19]
	v_mov_b32_e32 v17, v18
	v_lshl_add_u64 v[16:17], v[16:17], 3, v[0:1]
	global_load_dwordx2 v[16:17], v[16:17], off
	s_waitcnt vmcnt(0)
	ds_write_b64 v14, v[16:17] offset:2048
.LBB5_8:                                ;   in Loop: Header=BB5_3 Depth=1
	s_or_b64 exec, exec, s[22:23]
	v_add_u32_e32 v11, 16, v10
	v_cmp_gt_u32_e64 s[8:9], s17, v11
	s_and_saveexec_b64 s[22:23], s[8:9]
	s_cbranch_execz .LBB5_10
; %bb.9:                                ;   in Loop: Header=BB5_3 Depth=1
	v_mad_u64_u32 v[16:17], s[8:9], s12, v11, 0
	v_mov_b32_e32 v18, v17
	v_mad_u64_u32 v[18:19], s[8:9], s13, v11, v[18:19]
	v_mov_b32_e32 v17, v18
	v_lshl_add_u64 v[16:17], v[16:17], 3, v[0:1]
	global_load_dwordx2 v[16:17], v[16:17], off
	s_waitcnt vmcnt(0)
	ds_write_b64 v14, v[16:17] offset:4096
.LBB5_10:                               ;   in Loop: Header=BB5_3 Depth=1
	s_or_b64 exec, exec, s[22:23]
	v_add_u32_e32 v10, 24, v10
	v_cmp_gt_u32_e64 s[8:9], s17, v10
	s_and_b64 exec, exec, s[8:9]
	s_cbranch_execz .LBB5_12
; %bb.11:                               ;   in Loop: Header=BB5_3 Depth=1
	v_mad_u64_u32 v[16:17], s[8:9], s12, v10, 0
	v_mov_b32_e32 v18, v17
	v_mad_u64_u32 v[10:11], s[8:9], s13, v10, v[18:19]
	v_mov_b32_e32 v17, v10
	v_lshl_add_u64 v[10:11], v[16:17], 3, v[0:1]
	global_load_dwordx2 v[10:11], v[10:11], off
	s_waitcnt vmcnt(0)
	ds_write_b64 v14, v[10:11] offset:6144
.LBB5_12:                               ;   in Loop: Header=BB5_3 Depth=1
	s_or_b64 exec, exec, s[20:21]
	v_add_u32_e32 v10, s16, v12
	v_cmp_le_i32_e64 s[8:9], s17, v10
	v_ashrrev_i32_e32 v11, 31, v10
	v_lshl_add_u64 v[10:11], v[10:11], 3, s[14:15]
	s_nor_b64 s[22:23], s[8:9], s[0:1]
	s_waitcnt lgkmcnt(0)
	s_barrier
	s_and_saveexec_b64 s[20:21], s[22:23]
	s_cbranch_execnz .LBB5_16
; %bb.13:                               ;   in Loop: Header=BB5_3 Depth=1
	s_or_b64 exec, exec, s[20:21]
	s_nor_b64 s[22:23], s[8:9], s[2:3]
	s_and_saveexec_b64 s[20:21], s[22:23]
	s_cbranch_execnz .LBB5_17
.LBB5_14:                               ;   in Loop: Header=BB5_3 Depth=1
	s_or_b64 exec, exec, s[20:21]
	s_nor_b64 s[22:23], s[8:9], s[4:5]
	s_and_saveexec_b64 s[20:21], s[22:23]
	s_cbranch_execnz .LBB5_18
.LBB5_15:                               ;   in Loop: Header=BB5_3 Depth=1
	s_or_b64 exec, exec, s[20:21]
	s_nor_b64 s[20:21], s[8:9], s[6:7]
	s_and_saveexec_b64 s[8:9], s[20:21]
	s_cbranch_execz .LBB5_2
	s_branch .LBB5_19
.LBB5_16:                               ;   in Loop: Header=BB5_3 Depth=1
	ds_read_b64 v[16:17], v15
	v_lshl_add_u64 v[18:19], v[2:3], 3, v[10:11]
	s_waitcnt lgkmcnt(0)
	v_pk_mul_f32 v[20:21], v[16:17], s[18:19] op_sel:[1,0]
	s_nop 0
	v_pk_fma_f32 v[16:17], s[10:11], v[16:17], v[20:21] op_sel_hi:[1,0,1]
	global_store_dwordx2 v[18:19], v[16:17], off
	s_or_b64 exec, exec, s[20:21]
	s_nor_b64 s[22:23], s[8:9], s[2:3]
	s_and_saveexec_b64 s[20:21], s[22:23]
	s_cbranch_execz .LBB5_14
.LBB5_17:                               ;   in Loop: Header=BB5_3 Depth=1
	ds_read_b64 v[16:17], v15 offset:64
	v_lshl_add_u64 v[18:19], v[4:5], 3, v[10:11]
	s_waitcnt lgkmcnt(0)
	v_pk_mul_f32 v[20:21], v[16:17], s[18:19] op_sel:[1,0]
	s_nop 0
	v_pk_fma_f32 v[16:17], s[10:11], v[16:17], v[20:21] op_sel_hi:[1,0,1]
	global_store_dwordx2 v[18:19], v[16:17], off
	s_or_b64 exec, exec, s[20:21]
	s_nor_b64 s[22:23], s[8:9], s[4:5]
	s_and_saveexec_b64 s[20:21], s[22:23]
	s_cbranch_execz .LBB5_15
.LBB5_18:                               ;   in Loop: Header=BB5_3 Depth=1
	ds_read_b64 v[16:17], v15 offset:128
	v_lshl_add_u64 v[18:19], v[6:7], 3, v[10:11]
	s_waitcnt lgkmcnt(0)
	v_pk_mul_f32 v[20:21], v[16:17], s[18:19] op_sel:[1,0]
	s_nop 0
	v_pk_fma_f32 v[16:17], s[10:11], v[16:17], v[20:21] op_sel_hi:[1,0,1]
	global_store_dwordx2 v[18:19], v[16:17], off
	s_or_b64 exec, exec, s[20:21]
	s_nor_b64 s[20:21], s[8:9], s[6:7]
	s_and_saveexec_b64 s[8:9], s[20:21]
	s_cbranch_execz .LBB5_2
.LBB5_19:                               ;   in Loop: Header=BB5_3 Depth=1
	ds_read_b64 v[16:17], v15 offset:192
	v_lshl_add_u64 v[10:11], v[8:9], 3, v[10:11]
	s_waitcnt lgkmcnt(0)
	v_pk_mul_f32 v[18:19], v[16:17], s[18:19] op_sel:[1,0]
	s_nop 0
	v_pk_fma_f32 v[16:17], s[10:11], v[16:17], v[18:19] op_sel_hi:[1,0,1]
	global_store_dwordx2 v[10:11], v[16:17], off
	s_branch .LBB5_2
.LBB5_20:
	s_endpgm
	.section	.rodata,"a",@progbits
	.p2align	6, 0x0
	.amdhsa_kernel _ZN9rocsparseL22dense_transpose_kernelILj32ELj8Ei21rocsparse_complex_numIfEPKS2_EEvT1_S5_T3_PKT2_lPS7_l
		.amdhsa_group_segment_fixed_size 8192
		.amdhsa_private_segment_fixed_size 0
		.amdhsa_kernarg_size 48
		.amdhsa_user_sgpr_count 2
		.amdhsa_user_sgpr_dispatch_ptr 0
		.amdhsa_user_sgpr_queue_ptr 0
		.amdhsa_user_sgpr_kernarg_segment_ptr 1
		.amdhsa_user_sgpr_dispatch_id 0
		.amdhsa_user_sgpr_kernarg_preload_length 0
		.amdhsa_user_sgpr_kernarg_preload_offset 0
		.amdhsa_user_sgpr_private_segment_size 0
		.amdhsa_uses_dynamic_stack 0
		.amdhsa_enable_private_segment 0
		.amdhsa_system_sgpr_workgroup_id_x 1
		.amdhsa_system_sgpr_workgroup_id_y 0
		.amdhsa_system_sgpr_workgroup_id_z 0
		.amdhsa_system_sgpr_workgroup_info 0
		.amdhsa_system_vgpr_workitem_id 0
		.amdhsa_next_free_vgpr 22
		.amdhsa_next_free_sgpr 24
		.amdhsa_accum_offset 24
		.amdhsa_reserve_vcc 1
		.amdhsa_float_round_mode_32 0
		.amdhsa_float_round_mode_16_64 0
		.amdhsa_float_denorm_mode_32 3
		.amdhsa_float_denorm_mode_16_64 3
		.amdhsa_dx10_clamp 1
		.amdhsa_ieee_mode 1
		.amdhsa_fp16_overflow 0
		.amdhsa_tg_split 0
		.amdhsa_exception_fp_ieee_invalid_op 0
		.amdhsa_exception_fp_denorm_src 0
		.amdhsa_exception_fp_ieee_div_zero 0
		.amdhsa_exception_fp_ieee_overflow 0
		.amdhsa_exception_fp_ieee_underflow 0
		.amdhsa_exception_fp_ieee_inexact 0
		.amdhsa_exception_int_div_zero 0
	.end_amdhsa_kernel
	.section	.text._ZN9rocsparseL22dense_transpose_kernelILj32ELj8Ei21rocsparse_complex_numIfEPKS2_EEvT1_S5_T3_PKT2_lPS7_l,"axG",@progbits,_ZN9rocsparseL22dense_transpose_kernelILj32ELj8Ei21rocsparse_complex_numIfEPKS2_EEvT1_S5_T3_PKT2_lPS7_l,comdat
.Lfunc_end5:
	.size	_ZN9rocsparseL22dense_transpose_kernelILj32ELj8Ei21rocsparse_complex_numIfEPKS2_EEvT1_S5_T3_PKT2_lPS7_l, .Lfunc_end5-_ZN9rocsparseL22dense_transpose_kernelILj32ELj8Ei21rocsparse_complex_numIfEPKS2_EEvT1_S5_T3_PKT2_lPS7_l
                                        ; -- End function
	.set _ZN9rocsparseL22dense_transpose_kernelILj32ELj8Ei21rocsparse_complex_numIfEPKS2_EEvT1_S5_T3_PKT2_lPS7_l.num_vgpr, 22
	.set _ZN9rocsparseL22dense_transpose_kernelILj32ELj8Ei21rocsparse_complex_numIfEPKS2_EEvT1_S5_T3_PKT2_lPS7_l.num_agpr, 0
	.set _ZN9rocsparseL22dense_transpose_kernelILj32ELj8Ei21rocsparse_complex_numIfEPKS2_EEvT1_S5_T3_PKT2_lPS7_l.numbered_sgpr, 24
	.set _ZN9rocsparseL22dense_transpose_kernelILj32ELj8Ei21rocsparse_complex_numIfEPKS2_EEvT1_S5_T3_PKT2_lPS7_l.num_named_barrier, 0
	.set _ZN9rocsparseL22dense_transpose_kernelILj32ELj8Ei21rocsparse_complex_numIfEPKS2_EEvT1_S5_T3_PKT2_lPS7_l.private_seg_size, 0
	.set _ZN9rocsparseL22dense_transpose_kernelILj32ELj8Ei21rocsparse_complex_numIfEPKS2_EEvT1_S5_T3_PKT2_lPS7_l.uses_vcc, 1
	.set _ZN9rocsparseL22dense_transpose_kernelILj32ELj8Ei21rocsparse_complex_numIfEPKS2_EEvT1_S5_T3_PKT2_lPS7_l.uses_flat_scratch, 0
	.set _ZN9rocsparseL22dense_transpose_kernelILj32ELj8Ei21rocsparse_complex_numIfEPKS2_EEvT1_S5_T3_PKT2_lPS7_l.has_dyn_sized_stack, 0
	.set _ZN9rocsparseL22dense_transpose_kernelILj32ELj8Ei21rocsparse_complex_numIfEPKS2_EEvT1_S5_T3_PKT2_lPS7_l.has_recursion, 0
	.set _ZN9rocsparseL22dense_transpose_kernelILj32ELj8Ei21rocsparse_complex_numIfEPKS2_EEvT1_S5_T3_PKT2_lPS7_l.has_indirect_call, 0
	.section	.AMDGPU.csdata,"",@progbits
; Kernel info:
; codeLenInByte = 960
; TotalNumSgprs: 30
; NumVgprs: 22
; NumAgprs: 0
; TotalNumVgprs: 22
; ScratchSize: 0
; MemoryBound: 0
; FloatMode: 240
; IeeeMode: 1
; LDSByteSize: 8192 bytes/workgroup (compile time only)
; SGPRBlocks: 3
; VGPRBlocks: 2
; NumSGPRsForWavesPerEU: 30
; NumVGPRsForWavesPerEU: 22
; AccumOffset: 24
; Occupancy: 8
; WaveLimiterHint : 0
; COMPUTE_PGM_RSRC2:SCRATCH_EN: 0
; COMPUTE_PGM_RSRC2:USER_SGPR: 2
; COMPUTE_PGM_RSRC2:TRAP_HANDLER: 0
; COMPUTE_PGM_RSRC2:TGID_X_EN: 1
; COMPUTE_PGM_RSRC2:TGID_Y_EN: 0
; COMPUTE_PGM_RSRC2:TGID_Z_EN: 0
; COMPUTE_PGM_RSRC2:TIDIG_COMP_CNT: 0
; COMPUTE_PGM_RSRC3_GFX90A:ACCUM_OFFSET: 5
; COMPUTE_PGM_RSRC3_GFX90A:TG_SPLIT: 0
	.section	.text._ZN9rocsparseL22dense_transpose_kernelILj32ELj8Ei21rocsparse_complex_numIdES2_EEvT1_S3_T3_PKT2_lPS5_l,"axG",@progbits,_ZN9rocsparseL22dense_transpose_kernelILj32ELj8Ei21rocsparse_complex_numIdES2_EEvT1_S3_T3_PKT2_lPS5_l,comdat
	.globl	_ZN9rocsparseL22dense_transpose_kernelILj32ELj8Ei21rocsparse_complex_numIdES2_EEvT1_S3_T3_PKT2_lPS5_l ; -- Begin function _ZN9rocsparseL22dense_transpose_kernelILj32ELj8Ei21rocsparse_complex_numIdES2_EEvT1_S3_T3_PKT2_lPS5_l
	.p2align	8
	.type	_ZN9rocsparseL22dense_transpose_kernelILj32ELj8Ei21rocsparse_complex_numIdES2_EEvT1_S3_T3_PKT2_lPS5_l,@function
_ZN9rocsparseL22dense_transpose_kernelILj32ELj8Ei21rocsparse_complex_numIdES2_EEvT1_S3_T3_PKT2_lPS5_l: ; @_ZN9rocsparseL22dense_transpose_kernelILj32ELj8Ei21rocsparse_complex_numIdES2_EEvT1_S3_T3_PKT2_lPS5_l
; %bb.0:
	s_load_dwordx2 s[10:11], s[0:1], 0x0
	s_waitcnt lgkmcnt(0)
	s_cmp_lt_i32 s11, 1
	s_cbranch_scc1 .LBB6_20
; %bb.1:
	s_load_dwordx8 s[12:19], s[0:1], 0x8
	s_load_dwordx4 s[20:23], s[0:1], 0x28
	v_and_b32_e32 v12, 31, v0
	s_lshl_b32 s0, s2, 5
	v_or_b32_e32 v2, s0, v12
	v_lshrrev_b32_e32 v13, 5, v0
	s_waitcnt lgkmcnt(0)
	v_mov_b32_e32 v0, s16
	v_mov_b32_e32 v1, s17
	v_ashrrev_i32_e32 v3, 31, v2
	v_cmp_gt_i32_e32 vcc, s10, v2
	v_lshl_add_u64 v[0:1], v[2:3], 4, v[0:1]
	v_lshlrev_b32_e32 v2, 4, v12
	v_or_b32_e32 v10, s0, v13
	v_lshl_or_b32 v14, v13, 9, v2
	v_lshlrev_b32_e32 v2, 4, v13
	v_lshl_or_b32 v15, v12, 9, v2
	v_mad_u64_u32 v[2:3], s[2:3], s22, v10, 0
	v_mov_b32_e32 v4, v3
	v_mad_u64_u32 v[4:5], s[2:3], s23, v10, v[4:5]
	v_or_b32_e32 v7, 8, v10
	v_mov_b32_e32 v3, v4
	v_mad_u64_u32 v[4:5], s[4:5], s22, v7, 0
	v_mov_b32_e32 v6, v5
	v_cmp_le_u32_e64 s[2:3], s10, v7
	v_mad_u64_u32 v[6:7], s[4:5], s23, v7, v[6:7]
	v_or_b32_e32 v9, 16, v10
	v_mov_b32_e32 v5, v6
	v_mad_u64_u32 v[6:7], s[6:7], s22, v9, 0
	v_mov_b32_e32 v8, v7
	v_cmp_le_u32_e64 s[4:5], s10, v9
	v_mad_u64_u32 v[8:9], s[6:7], s23, v9, v[8:9]
	v_or_b32_e32 v11, 24, v10
	v_mov_b32_e32 v7, v8
	v_mad_u64_u32 v[8:9], s[8:9], s22, v11, 0
	v_cmp_le_u32_e64 s[0:1], s10, v10
	v_mov_b32_e32 v10, v9
	v_cmp_le_u32_e64 s[6:7], s10, v11
	v_mad_u64_u32 v[10:11], s[8:9], s23, v11, v[10:11]
	v_or_b32_e32 v16, 0x1000, v14
	v_or_b32_e32 v17, 0x2000, v14
	;; [unrolled: 1-line block ×3, first 2 shown]
	v_mov_b32_e32 v9, v10
	s_mov_b32 s10, 0
	s_branch .LBB6_3
.LBB6_2:                                ;   in Loop: Header=BB6_3 Depth=1
	s_or_b64 exec, exec, s[8:9]
	s_add_i32 s10, s10, 32
	s_cmp_lt_i32 s10, s11
	s_cbranch_scc0 .LBB6_20
.LBB6_3:                                ; =>This Inner Loop Header: Depth=1
	v_add_u32_e32 v10, s10, v13
	v_cmp_gt_u32_e64 s[8:9], s11, v10
	s_and_b64 s[16:17], vcc, s[8:9]
	s_barrier
	s_and_saveexec_b64 s[8:9], s[16:17]
	s_cbranch_execz .LBB6_5
; %bb.4:                                ;   in Loop: Header=BB6_3 Depth=1
	v_mad_u64_u32 v[20:21], s[16:17], s18, v10, 0
	v_mov_b32_e32 v22, v21
	v_mad_u64_u32 v[22:23], s[16:17], s19, v10, v[22:23]
	v_mov_b32_e32 v21, v22
	v_lshl_add_u64 v[20:21], v[20:21], 4, v[0:1]
	global_load_dwordx4 v[20:23], v[20:21], off
	s_waitcnt vmcnt(0)
	ds_write2_b64 v14, v[20:21], v[22:23] offset1:1
.LBB6_5:                                ;   in Loop: Header=BB6_3 Depth=1
	s_or_b64 exec, exec, s[8:9]
	s_and_saveexec_b64 s[16:17], vcc
	s_cbranch_execz .LBB6_12
; %bb.6:                                ;   in Loop: Header=BB6_3 Depth=1
	v_add_u32_e32 v11, 8, v10
	v_cmp_gt_u32_e64 s[8:9], s11, v11
	s_and_saveexec_b64 s[22:23], s[8:9]
	s_cbranch_execz .LBB6_8
; %bb.7:                                ;   in Loop: Header=BB6_3 Depth=1
	v_mad_u64_u32 v[20:21], s[8:9], s18, v11, 0
	v_mov_b32_e32 v22, v21
	v_mad_u64_u32 v[22:23], s[8:9], s19, v11, v[22:23]
	v_mov_b32_e32 v21, v22
	v_lshl_add_u64 v[20:21], v[20:21], 4, v[0:1]
	global_load_dwordx4 v[20:23], v[20:21], off
	s_waitcnt vmcnt(0)
	ds_write2_b64 v16, v[20:21], v[22:23] offset1:1
.LBB6_8:                                ;   in Loop: Header=BB6_3 Depth=1
	s_or_b64 exec, exec, s[22:23]
	v_add_u32_e32 v11, 16, v10
	v_cmp_gt_u32_e64 s[8:9], s11, v11
	s_and_saveexec_b64 s[22:23], s[8:9]
	s_cbranch_execz .LBB6_10
; %bb.9:                                ;   in Loop: Header=BB6_3 Depth=1
	v_mad_u64_u32 v[20:21], s[8:9], s18, v11, 0
	v_mov_b32_e32 v22, v21
	v_mad_u64_u32 v[22:23], s[8:9], s19, v11, v[22:23]
	v_mov_b32_e32 v21, v22
	v_lshl_add_u64 v[20:21], v[20:21], 4, v[0:1]
	global_load_dwordx4 v[20:23], v[20:21], off
	s_waitcnt vmcnt(0)
	ds_write2_b64 v17, v[20:21], v[22:23] offset1:1
.LBB6_10:                               ;   in Loop: Header=BB6_3 Depth=1
	s_or_b64 exec, exec, s[22:23]
	v_add_u32_e32 v10, 24, v10
	v_cmp_gt_u32_e64 s[8:9], s11, v10
	s_and_b64 exec, exec, s[8:9]
	s_cbranch_execz .LBB6_12
; %bb.11:                               ;   in Loop: Header=BB6_3 Depth=1
	v_mad_u64_u32 v[20:21], s[8:9], s18, v10, 0
	v_mov_b32_e32 v22, v21
	v_mad_u64_u32 v[10:11], s[8:9], s19, v10, v[22:23]
	v_mov_b32_e32 v21, v10
	v_lshl_add_u64 v[10:11], v[20:21], 4, v[0:1]
	global_load_dwordx4 v[20:23], v[10:11], off
	s_waitcnt vmcnt(0)
	ds_write2_b64 v18, v[20:21], v[22:23] offset1:1
.LBB6_12:                               ;   in Loop: Header=BB6_3 Depth=1
	s_or_b64 exec, exec, s[16:17]
	v_add_u32_e32 v10, s10, v12
	v_cmp_le_i32_e64 s[8:9], s11, v10
	v_ashrrev_i32_e32 v11, 31, v10
	v_lshl_add_u64 v[10:11], v[10:11], 4, s[20:21]
	s_nor_b64 s[22:23], s[8:9], s[0:1]
	s_waitcnt lgkmcnt(0)
	s_barrier
	s_and_saveexec_b64 s[16:17], s[22:23]
	s_cbranch_execnz .LBB6_16
; %bb.13:                               ;   in Loop: Header=BB6_3 Depth=1
	s_or_b64 exec, exec, s[16:17]
	s_nor_b64 s[22:23], s[8:9], s[2:3]
	s_and_saveexec_b64 s[16:17], s[22:23]
	s_cbranch_execnz .LBB6_17
.LBB6_14:                               ;   in Loop: Header=BB6_3 Depth=1
	s_or_b64 exec, exec, s[16:17]
	s_nor_b64 s[22:23], s[8:9], s[4:5]
	s_and_saveexec_b64 s[16:17], s[22:23]
	s_cbranch_execnz .LBB6_18
.LBB6_15:                               ;   in Loop: Header=BB6_3 Depth=1
	s_or_b64 exec, exec, s[16:17]
	s_nor_b64 s[16:17], s[8:9], s[6:7]
	s_and_saveexec_b64 s[8:9], s[16:17]
	s_cbranch_execz .LBB6_2
	s_branch .LBB6_19
.LBB6_16:                               ;   in Loop: Header=BB6_3 Depth=1
	ds_read_b128 v[20:23], v15
	s_waitcnt lgkmcnt(0)
	v_mul_f64 v[24:25], v[22:23], -s[14:15]
	v_mul_f64 v[26:27], s[12:13], v[22:23]
	v_fmac_f64_e32 v[24:25], s[12:13], v[20:21]
	v_fmac_f64_e32 v[26:27], s[14:15], v[20:21]
	v_lshl_add_u64 v[20:21], v[2:3], 4, v[10:11]
	global_store_dwordx4 v[20:21], v[24:27], off
	s_or_b64 exec, exec, s[16:17]
	s_nor_b64 s[22:23], s[8:9], s[2:3]
	s_and_saveexec_b64 s[16:17], s[22:23]
	s_cbranch_execz .LBB6_14
.LBB6_17:                               ;   in Loop: Header=BB6_3 Depth=1
	ds_read_b128 v[20:23], v15 offset:128
	s_waitcnt lgkmcnt(0)
	v_mul_f64 v[24:25], v[22:23], -s[14:15]
	v_mul_f64 v[26:27], s[12:13], v[22:23]
	v_fmac_f64_e32 v[24:25], s[12:13], v[20:21]
	v_fmac_f64_e32 v[26:27], s[14:15], v[20:21]
	v_lshl_add_u64 v[20:21], v[4:5], 4, v[10:11]
	global_store_dwordx4 v[20:21], v[24:27], off
	s_or_b64 exec, exec, s[16:17]
	s_nor_b64 s[22:23], s[8:9], s[4:5]
	s_and_saveexec_b64 s[16:17], s[22:23]
	s_cbranch_execz .LBB6_15
.LBB6_18:                               ;   in Loop: Header=BB6_3 Depth=1
	ds_read_b128 v[20:23], v15 offset:256
	s_waitcnt lgkmcnt(0)
	v_mul_f64 v[24:25], v[22:23], -s[14:15]
	v_mul_f64 v[26:27], s[12:13], v[22:23]
	v_fmac_f64_e32 v[24:25], s[12:13], v[20:21]
	v_fmac_f64_e32 v[26:27], s[14:15], v[20:21]
	v_lshl_add_u64 v[20:21], v[6:7], 4, v[10:11]
	global_store_dwordx4 v[20:21], v[24:27], off
	s_or_b64 exec, exec, s[16:17]
	s_nor_b64 s[16:17], s[8:9], s[6:7]
	s_and_saveexec_b64 s[8:9], s[16:17]
	s_cbranch_execz .LBB6_2
.LBB6_19:                               ;   in Loop: Header=BB6_3 Depth=1
	ds_read_b128 v[20:23], v15 offset:384
	v_lshl_add_u64 v[10:11], v[8:9], 4, v[10:11]
	s_waitcnt lgkmcnt(0)
	v_mul_f64 v[24:25], v[22:23], -s[14:15]
	v_mul_f64 v[26:27], s[12:13], v[22:23]
	v_fmac_f64_e32 v[24:25], s[12:13], v[20:21]
	v_fmac_f64_e32 v[26:27], s[14:15], v[20:21]
	global_store_dwordx4 v[10:11], v[24:27], off
	s_branch .LBB6_2
.LBB6_20:
	s_endpgm
	.section	.rodata,"a",@progbits
	.p2align	6, 0x0
	.amdhsa_kernel _ZN9rocsparseL22dense_transpose_kernelILj32ELj8Ei21rocsparse_complex_numIdES2_EEvT1_S3_T3_PKT2_lPS5_l
		.amdhsa_group_segment_fixed_size 16384
		.amdhsa_private_segment_fixed_size 0
		.amdhsa_kernarg_size 56
		.amdhsa_user_sgpr_count 2
		.amdhsa_user_sgpr_dispatch_ptr 0
		.amdhsa_user_sgpr_queue_ptr 0
		.amdhsa_user_sgpr_kernarg_segment_ptr 1
		.amdhsa_user_sgpr_dispatch_id 0
		.amdhsa_user_sgpr_kernarg_preload_length 0
		.amdhsa_user_sgpr_kernarg_preload_offset 0
		.amdhsa_user_sgpr_private_segment_size 0
		.amdhsa_uses_dynamic_stack 0
		.amdhsa_enable_private_segment 0
		.amdhsa_system_sgpr_workgroup_id_x 1
		.amdhsa_system_sgpr_workgroup_id_y 0
		.amdhsa_system_sgpr_workgroup_id_z 0
		.amdhsa_system_sgpr_workgroup_info 0
		.amdhsa_system_vgpr_workitem_id 0
		.amdhsa_next_free_vgpr 28
		.amdhsa_next_free_sgpr 24
		.amdhsa_accum_offset 28
		.amdhsa_reserve_vcc 1
		.amdhsa_float_round_mode_32 0
		.amdhsa_float_round_mode_16_64 0
		.amdhsa_float_denorm_mode_32 3
		.amdhsa_float_denorm_mode_16_64 3
		.amdhsa_dx10_clamp 1
		.amdhsa_ieee_mode 1
		.amdhsa_fp16_overflow 0
		.amdhsa_tg_split 0
		.amdhsa_exception_fp_ieee_invalid_op 0
		.amdhsa_exception_fp_denorm_src 0
		.amdhsa_exception_fp_ieee_div_zero 0
		.amdhsa_exception_fp_ieee_overflow 0
		.amdhsa_exception_fp_ieee_underflow 0
		.amdhsa_exception_fp_ieee_inexact 0
		.amdhsa_exception_int_div_zero 0
	.end_amdhsa_kernel
	.section	.text._ZN9rocsparseL22dense_transpose_kernelILj32ELj8Ei21rocsparse_complex_numIdES2_EEvT1_S3_T3_PKT2_lPS5_l,"axG",@progbits,_ZN9rocsparseL22dense_transpose_kernelILj32ELj8Ei21rocsparse_complex_numIdES2_EEvT1_S3_T3_PKT2_lPS5_l,comdat
.Lfunc_end6:
	.size	_ZN9rocsparseL22dense_transpose_kernelILj32ELj8Ei21rocsparse_complex_numIdES2_EEvT1_S3_T3_PKT2_lPS5_l, .Lfunc_end6-_ZN9rocsparseL22dense_transpose_kernelILj32ELj8Ei21rocsparse_complex_numIdES2_EEvT1_S3_T3_PKT2_lPS5_l
                                        ; -- End function
	.set _ZN9rocsparseL22dense_transpose_kernelILj32ELj8Ei21rocsparse_complex_numIdES2_EEvT1_S3_T3_PKT2_lPS5_l.num_vgpr, 28
	.set _ZN9rocsparseL22dense_transpose_kernelILj32ELj8Ei21rocsparse_complex_numIdES2_EEvT1_S3_T3_PKT2_lPS5_l.num_agpr, 0
	.set _ZN9rocsparseL22dense_transpose_kernelILj32ELj8Ei21rocsparse_complex_numIdES2_EEvT1_S3_T3_PKT2_lPS5_l.numbered_sgpr, 24
	.set _ZN9rocsparseL22dense_transpose_kernelILj32ELj8Ei21rocsparse_complex_numIdES2_EEvT1_S3_T3_PKT2_lPS5_l.num_named_barrier, 0
	.set _ZN9rocsparseL22dense_transpose_kernelILj32ELj8Ei21rocsparse_complex_numIdES2_EEvT1_S3_T3_PKT2_lPS5_l.private_seg_size, 0
	.set _ZN9rocsparseL22dense_transpose_kernelILj32ELj8Ei21rocsparse_complex_numIdES2_EEvT1_S3_T3_PKT2_lPS5_l.uses_vcc, 1
	.set _ZN9rocsparseL22dense_transpose_kernelILj32ELj8Ei21rocsparse_complex_numIdES2_EEvT1_S3_T3_PKT2_lPS5_l.uses_flat_scratch, 0
	.set _ZN9rocsparseL22dense_transpose_kernelILj32ELj8Ei21rocsparse_complex_numIdES2_EEvT1_S3_T3_PKT2_lPS5_l.has_dyn_sized_stack, 0
	.set _ZN9rocsparseL22dense_transpose_kernelILj32ELj8Ei21rocsparse_complex_numIdES2_EEvT1_S3_T3_PKT2_lPS5_l.has_recursion, 0
	.set _ZN9rocsparseL22dense_transpose_kernelILj32ELj8Ei21rocsparse_complex_numIdES2_EEvT1_S3_T3_PKT2_lPS5_l.has_indirect_call, 0
	.section	.AMDGPU.csdata,"",@progbits
; Kernel info:
; codeLenInByte = 976
; TotalNumSgprs: 30
; NumVgprs: 28
; NumAgprs: 0
; TotalNumVgprs: 28
; ScratchSize: 0
; MemoryBound: 0
; FloatMode: 240
; IeeeMode: 1
; LDSByteSize: 16384 bytes/workgroup (compile time only)
; SGPRBlocks: 3
; VGPRBlocks: 3
; NumSGPRsForWavesPerEU: 30
; NumVGPRsForWavesPerEU: 28
; AccumOffset: 28
; Occupancy: 8
; WaveLimiterHint : 0
; COMPUTE_PGM_RSRC2:SCRATCH_EN: 0
; COMPUTE_PGM_RSRC2:USER_SGPR: 2
; COMPUTE_PGM_RSRC2:TRAP_HANDLER: 0
; COMPUTE_PGM_RSRC2:TGID_X_EN: 1
; COMPUTE_PGM_RSRC2:TGID_Y_EN: 0
; COMPUTE_PGM_RSRC2:TGID_Z_EN: 0
; COMPUTE_PGM_RSRC2:TIDIG_COMP_CNT: 0
; COMPUTE_PGM_RSRC3_GFX90A:ACCUM_OFFSET: 6
; COMPUTE_PGM_RSRC3_GFX90A:TG_SPLIT: 0
	.section	.text._ZN9rocsparseL22dense_transpose_kernelILj32ELj8Ei21rocsparse_complex_numIdEPKS2_EEvT1_S5_T3_PKT2_lPS7_l,"axG",@progbits,_ZN9rocsparseL22dense_transpose_kernelILj32ELj8Ei21rocsparse_complex_numIdEPKS2_EEvT1_S5_T3_PKT2_lPS7_l,comdat
	.globl	_ZN9rocsparseL22dense_transpose_kernelILj32ELj8Ei21rocsparse_complex_numIdEPKS2_EEvT1_S5_T3_PKT2_lPS7_l ; -- Begin function _ZN9rocsparseL22dense_transpose_kernelILj32ELj8Ei21rocsparse_complex_numIdEPKS2_EEvT1_S5_T3_PKT2_lPS7_l
	.p2align	8
	.type	_ZN9rocsparseL22dense_transpose_kernelILj32ELj8Ei21rocsparse_complex_numIdEPKS2_EEvT1_S5_T3_PKT2_lPS7_l,@function
_ZN9rocsparseL22dense_transpose_kernelILj32ELj8Ei21rocsparse_complex_numIdEPKS2_EEvT1_S5_T3_PKT2_lPS7_l: ; @_ZN9rocsparseL22dense_transpose_kernelILj32ELj8Ei21rocsparse_complex_numIdEPKS2_EEvT1_S5_T3_PKT2_lPS7_l
; %bb.0:
	s_load_dwordx2 s[20:21], s[0:1], 0x0
	s_waitcnt lgkmcnt(0)
	s_cmp_lt_i32 s21, 1
	s_cbranch_scc1 .LBB7_20
; %bb.1:
	s_load_dwordx8 s[8:15], s[0:1], 0x8
	s_load_dwordx2 s[22:23], s[0:1], 0x28
	v_and_b32_e32 v12, 31, v0
	s_lshl_b32 s0, s2, 5
	v_lshrrev_b32_e32 v13, 5, v0
	v_or_b32_e32 v0, s0, v12
	s_waitcnt lgkmcnt(0)
	v_mov_b32_e32 v2, s10
	v_mov_b32_e32 v3, s11
	v_ashrrev_i32_e32 v1, 31, v0
	v_cmp_gt_i32_e32 vcc, s20, v0
	v_lshl_add_u64 v[0:1], v[0:1], 4, v[2:3]
	v_lshlrev_b32_e32 v2, 4, v12
	v_or_b32_e32 v10, s0, v13
	v_lshl_or_b32 v14, v13, 9, v2
	v_lshlrev_b32_e32 v2, 4, v13
	v_lshl_or_b32 v15, v12, 9, v2
	v_mad_u64_u32 v[2:3], s[2:3], s22, v10, 0
	v_mov_b32_e32 v4, v3
	v_mad_u64_u32 v[4:5], s[2:3], s23, v10, v[4:5]
	v_or_b32_e32 v7, 8, v10
	v_mov_b32_e32 v3, v4
	v_mad_u64_u32 v[4:5], s[4:5], s22, v7, 0
	v_mov_b32_e32 v6, v5
	v_cmp_le_u32_e64 s[2:3], s20, v7
	v_mad_u64_u32 v[6:7], s[4:5], s23, v7, v[6:7]
	v_or_b32_e32 v9, 16, v10
	v_mov_b32_e32 v5, v6
	v_mad_u64_u32 v[6:7], s[6:7], s22, v9, 0
	v_mov_b32_e32 v8, v7
	s_load_dwordx4 s[16:19], s[8:9], 0x0
	v_cmp_le_u32_e64 s[4:5], s20, v9
	v_mad_u64_u32 v[8:9], s[6:7], s23, v9, v[8:9]
	v_or_b32_e32 v11, 24, v10
	v_mov_b32_e32 v7, v8
	v_mad_u64_u32 v[8:9], s[8:9], s22, v11, 0
	v_cmp_le_u32_e64 s[0:1], s20, v10
	v_mov_b32_e32 v10, v9
	v_cmp_le_u32_e64 s[6:7], s20, v11
	v_mad_u64_u32 v[10:11], s[8:9], s23, v11, v[10:11]
	v_or_b32_e32 v16, 0x1000, v14
	v_or_b32_e32 v17, 0x2000, v14
	;; [unrolled: 1-line block ×3, first 2 shown]
	v_mov_b32_e32 v9, v10
	s_mov_b32 s20, 0
	s_branch .LBB7_3
.LBB7_2:                                ;   in Loop: Header=BB7_3 Depth=1
	s_or_b64 exec, exec, s[8:9]
	s_add_i32 s20, s20, 32
	s_cmp_lt_i32 s20, s21
	s_cbranch_scc0 .LBB7_20
.LBB7_3:                                ; =>This Inner Loop Header: Depth=1
	v_add_u32_e32 v10, s20, v13
	v_cmp_gt_u32_e64 s[8:9], s21, v10
	s_and_b64 s[10:11], vcc, s[8:9]
	s_waitcnt lgkmcnt(0)
	s_barrier
	s_and_saveexec_b64 s[8:9], s[10:11]
	s_cbranch_execz .LBB7_5
; %bb.4:                                ;   in Loop: Header=BB7_3 Depth=1
	v_mad_u64_u32 v[20:21], s[10:11], s12, v10, 0
	v_mov_b32_e32 v22, v21
	v_mad_u64_u32 v[22:23], s[10:11], s13, v10, v[22:23]
	v_mov_b32_e32 v21, v22
	v_lshl_add_u64 v[20:21], v[20:21], 4, v[0:1]
	global_load_dwordx4 v[20:23], v[20:21], off
	s_waitcnt vmcnt(0)
	ds_write2_b64 v14, v[20:21], v[22:23] offset1:1
.LBB7_5:                                ;   in Loop: Header=BB7_3 Depth=1
	s_or_b64 exec, exec, s[8:9]
	s_and_saveexec_b64 s[10:11], vcc
	s_cbranch_execz .LBB7_12
; %bb.6:                                ;   in Loop: Header=BB7_3 Depth=1
	v_add_u32_e32 v11, 8, v10
	v_cmp_gt_u32_e64 s[8:9], s21, v11
	s_and_saveexec_b64 s[22:23], s[8:9]
	s_cbranch_execz .LBB7_8
; %bb.7:                                ;   in Loop: Header=BB7_3 Depth=1
	v_mad_u64_u32 v[20:21], s[8:9], s12, v11, 0
	v_mov_b32_e32 v22, v21
	v_mad_u64_u32 v[22:23], s[8:9], s13, v11, v[22:23]
	v_mov_b32_e32 v21, v22
	v_lshl_add_u64 v[20:21], v[20:21], 4, v[0:1]
	global_load_dwordx4 v[20:23], v[20:21], off
	s_waitcnt vmcnt(0)
	ds_write2_b64 v16, v[20:21], v[22:23] offset1:1
.LBB7_8:                                ;   in Loop: Header=BB7_3 Depth=1
	s_or_b64 exec, exec, s[22:23]
	v_add_u32_e32 v11, 16, v10
	v_cmp_gt_u32_e64 s[8:9], s21, v11
	s_and_saveexec_b64 s[22:23], s[8:9]
	s_cbranch_execz .LBB7_10
; %bb.9:                                ;   in Loop: Header=BB7_3 Depth=1
	v_mad_u64_u32 v[20:21], s[8:9], s12, v11, 0
	v_mov_b32_e32 v22, v21
	v_mad_u64_u32 v[22:23], s[8:9], s13, v11, v[22:23]
	v_mov_b32_e32 v21, v22
	v_lshl_add_u64 v[20:21], v[20:21], 4, v[0:1]
	global_load_dwordx4 v[20:23], v[20:21], off
	s_waitcnt vmcnt(0)
	ds_write2_b64 v17, v[20:21], v[22:23] offset1:1
.LBB7_10:                               ;   in Loop: Header=BB7_3 Depth=1
	s_or_b64 exec, exec, s[22:23]
	v_add_u32_e32 v10, 24, v10
	v_cmp_gt_u32_e64 s[8:9], s21, v10
	s_and_b64 exec, exec, s[8:9]
	s_cbranch_execz .LBB7_12
; %bb.11:                               ;   in Loop: Header=BB7_3 Depth=1
	v_mad_u64_u32 v[20:21], s[8:9], s12, v10, 0
	v_mov_b32_e32 v22, v21
	v_mad_u64_u32 v[10:11], s[8:9], s13, v10, v[22:23]
	v_mov_b32_e32 v21, v10
	v_lshl_add_u64 v[10:11], v[20:21], 4, v[0:1]
	global_load_dwordx4 v[20:23], v[10:11], off
	s_waitcnt vmcnt(0)
	ds_write2_b64 v18, v[20:21], v[22:23] offset1:1
.LBB7_12:                               ;   in Loop: Header=BB7_3 Depth=1
	s_or_b64 exec, exec, s[10:11]
	v_add_u32_e32 v10, s20, v12
	v_cmp_le_i32_e64 s[8:9], s21, v10
	v_ashrrev_i32_e32 v11, 31, v10
	v_lshl_add_u64 v[10:11], v[10:11], 4, s[14:15]
	s_nor_b64 s[22:23], s[8:9], s[0:1]
	s_waitcnt lgkmcnt(0)
	s_barrier
	s_and_saveexec_b64 s[10:11], s[22:23]
	s_cbranch_execnz .LBB7_16
; %bb.13:                               ;   in Loop: Header=BB7_3 Depth=1
	s_or_b64 exec, exec, s[10:11]
	s_nor_b64 s[22:23], s[8:9], s[2:3]
	s_and_saveexec_b64 s[10:11], s[22:23]
	s_cbranch_execnz .LBB7_17
.LBB7_14:                               ;   in Loop: Header=BB7_3 Depth=1
	s_or_b64 exec, exec, s[10:11]
	s_nor_b64 s[22:23], s[8:9], s[4:5]
	s_and_saveexec_b64 s[10:11], s[22:23]
	s_cbranch_execnz .LBB7_18
.LBB7_15:                               ;   in Loop: Header=BB7_3 Depth=1
	s_or_b64 exec, exec, s[10:11]
	s_nor_b64 s[10:11], s[8:9], s[6:7]
	s_and_saveexec_b64 s[8:9], s[10:11]
	s_cbranch_execz .LBB7_2
	s_branch .LBB7_19
.LBB7_16:                               ;   in Loop: Header=BB7_3 Depth=1
	ds_read_b128 v[20:23], v15
	s_waitcnt lgkmcnt(0)
	v_mul_f64 v[24:25], v[22:23], -s[18:19]
	v_mul_f64 v[26:27], s[16:17], v[22:23]
	v_fmac_f64_e32 v[24:25], s[16:17], v[20:21]
	v_fmac_f64_e32 v[26:27], s[18:19], v[20:21]
	v_lshl_add_u64 v[20:21], v[2:3], 4, v[10:11]
	global_store_dwordx4 v[20:21], v[24:27], off
	s_or_b64 exec, exec, s[10:11]
	s_nor_b64 s[22:23], s[8:9], s[2:3]
	s_and_saveexec_b64 s[10:11], s[22:23]
	s_cbranch_execz .LBB7_14
.LBB7_17:                               ;   in Loop: Header=BB7_3 Depth=1
	ds_read_b128 v[20:23], v15 offset:128
	s_waitcnt lgkmcnt(0)
	v_mul_f64 v[24:25], v[22:23], -s[18:19]
	v_mul_f64 v[26:27], s[16:17], v[22:23]
	v_fmac_f64_e32 v[24:25], s[16:17], v[20:21]
	v_fmac_f64_e32 v[26:27], s[18:19], v[20:21]
	v_lshl_add_u64 v[20:21], v[4:5], 4, v[10:11]
	global_store_dwordx4 v[20:21], v[24:27], off
	s_or_b64 exec, exec, s[10:11]
	s_nor_b64 s[22:23], s[8:9], s[4:5]
	s_and_saveexec_b64 s[10:11], s[22:23]
	s_cbranch_execz .LBB7_15
.LBB7_18:                               ;   in Loop: Header=BB7_3 Depth=1
	ds_read_b128 v[20:23], v15 offset:256
	s_waitcnt lgkmcnt(0)
	v_mul_f64 v[24:25], v[22:23], -s[18:19]
	v_mul_f64 v[26:27], s[16:17], v[22:23]
	v_fmac_f64_e32 v[24:25], s[16:17], v[20:21]
	v_fmac_f64_e32 v[26:27], s[18:19], v[20:21]
	v_lshl_add_u64 v[20:21], v[6:7], 4, v[10:11]
	global_store_dwordx4 v[20:21], v[24:27], off
	s_or_b64 exec, exec, s[10:11]
	s_nor_b64 s[10:11], s[8:9], s[6:7]
	s_and_saveexec_b64 s[8:9], s[10:11]
	s_cbranch_execz .LBB7_2
.LBB7_19:                               ;   in Loop: Header=BB7_3 Depth=1
	ds_read_b128 v[20:23], v15 offset:384
	v_lshl_add_u64 v[10:11], v[8:9], 4, v[10:11]
	s_waitcnt lgkmcnt(0)
	v_mul_f64 v[24:25], v[22:23], -s[18:19]
	v_mul_f64 v[26:27], s[16:17], v[22:23]
	v_fmac_f64_e32 v[24:25], s[16:17], v[20:21]
	v_fmac_f64_e32 v[26:27], s[18:19], v[20:21]
	global_store_dwordx4 v[10:11], v[24:27], off
	s_branch .LBB7_2
.LBB7_20:
	s_endpgm
	.section	.rodata,"a",@progbits
	.p2align	6, 0x0
	.amdhsa_kernel _ZN9rocsparseL22dense_transpose_kernelILj32ELj8Ei21rocsparse_complex_numIdEPKS2_EEvT1_S5_T3_PKT2_lPS7_l
		.amdhsa_group_segment_fixed_size 16384
		.amdhsa_private_segment_fixed_size 0
		.amdhsa_kernarg_size 48
		.amdhsa_user_sgpr_count 2
		.amdhsa_user_sgpr_dispatch_ptr 0
		.amdhsa_user_sgpr_queue_ptr 0
		.amdhsa_user_sgpr_kernarg_segment_ptr 1
		.amdhsa_user_sgpr_dispatch_id 0
		.amdhsa_user_sgpr_kernarg_preload_length 0
		.amdhsa_user_sgpr_kernarg_preload_offset 0
		.amdhsa_user_sgpr_private_segment_size 0
		.amdhsa_uses_dynamic_stack 0
		.amdhsa_enable_private_segment 0
		.amdhsa_system_sgpr_workgroup_id_x 1
		.amdhsa_system_sgpr_workgroup_id_y 0
		.amdhsa_system_sgpr_workgroup_id_z 0
		.amdhsa_system_sgpr_workgroup_info 0
		.amdhsa_system_vgpr_workitem_id 0
		.amdhsa_next_free_vgpr 28
		.amdhsa_next_free_sgpr 24
		.amdhsa_accum_offset 28
		.amdhsa_reserve_vcc 1
		.amdhsa_float_round_mode_32 0
		.amdhsa_float_round_mode_16_64 0
		.amdhsa_float_denorm_mode_32 3
		.amdhsa_float_denorm_mode_16_64 3
		.amdhsa_dx10_clamp 1
		.amdhsa_ieee_mode 1
		.amdhsa_fp16_overflow 0
		.amdhsa_tg_split 0
		.amdhsa_exception_fp_ieee_invalid_op 0
		.amdhsa_exception_fp_denorm_src 0
		.amdhsa_exception_fp_ieee_div_zero 0
		.amdhsa_exception_fp_ieee_overflow 0
		.amdhsa_exception_fp_ieee_underflow 0
		.amdhsa_exception_fp_ieee_inexact 0
		.amdhsa_exception_int_div_zero 0
	.end_amdhsa_kernel
	.section	.text._ZN9rocsparseL22dense_transpose_kernelILj32ELj8Ei21rocsparse_complex_numIdEPKS2_EEvT1_S5_T3_PKT2_lPS7_l,"axG",@progbits,_ZN9rocsparseL22dense_transpose_kernelILj32ELj8Ei21rocsparse_complex_numIdEPKS2_EEvT1_S5_T3_PKT2_lPS7_l,comdat
.Lfunc_end7:
	.size	_ZN9rocsparseL22dense_transpose_kernelILj32ELj8Ei21rocsparse_complex_numIdEPKS2_EEvT1_S5_T3_PKT2_lPS7_l, .Lfunc_end7-_ZN9rocsparseL22dense_transpose_kernelILj32ELj8Ei21rocsparse_complex_numIdEPKS2_EEvT1_S5_T3_PKT2_lPS7_l
                                        ; -- End function
	.set _ZN9rocsparseL22dense_transpose_kernelILj32ELj8Ei21rocsparse_complex_numIdEPKS2_EEvT1_S5_T3_PKT2_lPS7_l.num_vgpr, 28
	.set _ZN9rocsparseL22dense_transpose_kernelILj32ELj8Ei21rocsparse_complex_numIdEPKS2_EEvT1_S5_T3_PKT2_lPS7_l.num_agpr, 0
	.set _ZN9rocsparseL22dense_transpose_kernelILj32ELj8Ei21rocsparse_complex_numIdEPKS2_EEvT1_S5_T3_PKT2_lPS7_l.numbered_sgpr, 24
	.set _ZN9rocsparseL22dense_transpose_kernelILj32ELj8Ei21rocsparse_complex_numIdEPKS2_EEvT1_S5_T3_PKT2_lPS7_l.num_named_barrier, 0
	.set _ZN9rocsparseL22dense_transpose_kernelILj32ELj8Ei21rocsparse_complex_numIdEPKS2_EEvT1_S5_T3_PKT2_lPS7_l.private_seg_size, 0
	.set _ZN9rocsparseL22dense_transpose_kernelILj32ELj8Ei21rocsparse_complex_numIdEPKS2_EEvT1_S5_T3_PKT2_lPS7_l.uses_vcc, 1
	.set _ZN9rocsparseL22dense_transpose_kernelILj32ELj8Ei21rocsparse_complex_numIdEPKS2_EEvT1_S5_T3_PKT2_lPS7_l.uses_flat_scratch, 0
	.set _ZN9rocsparseL22dense_transpose_kernelILj32ELj8Ei21rocsparse_complex_numIdEPKS2_EEvT1_S5_T3_PKT2_lPS7_l.has_dyn_sized_stack, 0
	.set _ZN9rocsparseL22dense_transpose_kernelILj32ELj8Ei21rocsparse_complex_numIdEPKS2_EEvT1_S5_T3_PKT2_lPS7_l.has_recursion, 0
	.set _ZN9rocsparseL22dense_transpose_kernelILj32ELj8Ei21rocsparse_complex_numIdEPKS2_EEvT1_S5_T3_PKT2_lPS7_l.has_indirect_call, 0
	.section	.AMDGPU.csdata,"",@progbits
; Kernel info:
; codeLenInByte = 988
; TotalNumSgprs: 30
; NumVgprs: 28
; NumAgprs: 0
; TotalNumVgprs: 28
; ScratchSize: 0
; MemoryBound: 0
; FloatMode: 240
; IeeeMode: 1
; LDSByteSize: 16384 bytes/workgroup (compile time only)
; SGPRBlocks: 3
; VGPRBlocks: 3
; NumSGPRsForWavesPerEU: 30
; NumVGPRsForWavesPerEU: 28
; AccumOffset: 28
; Occupancy: 8
; WaveLimiterHint : 0
; COMPUTE_PGM_RSRC2:SCRATCH_EN: 0
; COMPUTE_PGM_RSRC2:USER_SGPR: 2
; COMPUTE_PGM_RSRC2:TRAP_HANDLER: 0
; COMPUTE_PGM_RSRC2:TGID_X_EN: 1
; COMPUTE_PGM_RSRC2:TGID_Y_EN: 0
; COMPUTE_PGM_RSRC2:TGID_Z_EN: 0
; COMPUTE_PGM_RSRC2:TIDIG_COMP_CNT: 0
; COMPUTE_PGM_RSRC3_GFX90A:ACCUM_OFFSET: 6
; COMPUTE_PGM_RSRC3_GFX90A:TG_SPLIT: 0
	.section	.text._ZN9rocsparseL22dense_transpose_kernelILj32ELj8ElffEEvT1_S1_T3_PKT2_lPS3_l,"axG",@progbits,_ZN9rocsparseL22dense_transpose_kernelILj32ELj8ElffEEvT1_S1_T3_PKT2_lPS3_l,comdat
	.globl	_ZN9rocsparseL22dense_transpose_kernelILj32ELj8ElffEEvT1_S1_T3_PKT2_lPS3_l ; -- Begin function _ZN9rocsparseL22dense_transpose_kernelILj32ELj8ElffEEvT1_S1_T3_PKT2_lPS3_l
	.p2align	8
	.type	_ZN9rocsparseL22dense_transpose_kernelILj32ELj8ElffEEvT1_S1_T3_PKT2_lPS3_l,@function
_ZN9rocsparseL22dense_transpose_kernelILj32ELj8ElffEEvT1_S1_T3_PKT2_lPS3_l: ; @_ZN9rocsparseL22dense_transpose_kernelILj32ELj8ElffEEvT1_S1_T3_PKT2_lPS3_l
; %bb.0:
	s_load_dwordx4 s[16:19], s[0:1], 0x0
	s_waitcnt lgkmcnt(0)
	v_cmp_lt_i64_e64 s[4:5], s[18:19], 1
	s_and_b64 vcc, exec, s[4:5]
	s_cbranch_vccnz .LBB8_20
; %bb.1:
	s_load_dwordx8 s[8:15], s[0:1], 0x18
	s_load_dword s22, s[0:1], 0x10
	s_lshl_b32 s0, s2, 5
	v_lshrrev_b32_e32 v2, 5, v0
	v_or_b32_e32 v6, s0, v2
	v_mov_b32_e32 v7, 0
	v_and_b32_e32 v0, 31, v0
	v_or_b32_e32 v18, s0, v0
	v_mov_b32_e32 v19, v7
	v_or_b32_e32 v8, 8, v6
	v_mov_b32_e32 v9, v7
	;; [unrolled: 2-line block ×4, first 2 shown]
	s_waitcnt lgkmcnt(0)
	v_mov_b32_e32 v16, s8
	v_mov_b32_e32 v17, s9
	v_cmp_gt_i64_e64 s[0:1], s[16:17], v[18:19]
	v_cmp_le_i64_e64 s[2:3], s[16:17], v[6:7]
	v_cmp_le_i64_e64 s[4:5], s[16:17], v[8:9]
	;; [unrolled: 1-line block ×4, first 2 shown]
	v_mad_u64_u32 v[14:15], s[16:17], s14, v6, 0
	v_lshlrev_b32_e32 v5, 2, v2
	v_mov_b32_e32 v20, v15
	v_mov_b32_e32 v3, v7
	;; [unrolled: 1-line block ×3, first 2 shown]
	v_lshl_or_b32 v27, v0, 7, v5
	v_mov_b32_e32 v5, v7
	v_mad_u64_u32 v[6:7], s[16:17], s15, v6, v[20:21]
	v_mov_b32_e32 v15, v6
	v_lshl_add_u64 v[6:7], v[14:15], 2, s[12:13]
	v_mad_u64_u32 v[14:15], s[16:17], s14, v8, 0
	v_mov_b32_e32 v20, v15
	v_mad_u64_u32 v[8:9], s[16:17], s15, v8, v[20:21]
	v_mov_b32_e32 v15, v8
	v_lshl_add_u64 v[8:9], v[14:15], 2, s[12:13]
	v_mad_u64_u32 v[14:15], s[16:17], s14, v10, 0
	;; [unrolled: 5-line block ×4, first 2 shown]
	v_mov_b32_e32 v20, v15
	v_mad_u64_u32 v[20:21], s[12:13], s11, v2, v[20:21]
	v_or_b32_e32 v21, 24, v2
	v_lshl_add_u64 v[16:17], v[18:19], 2, v[16:17]
	v_mad_u64_u32 v[18:19], s[14:15], s10, v21, 0
	v_mov_b32_e32 v15, v20
	v_mov_b32_e32 v20, v19
	v_mad_u64_u32 v[20:21], s[14:15], s11, v21, v[20:21]
	v_or_b32_e32 v23, 16, v2
	v_mov_b32_e32 v19, v20
	v_mad_u64_u32 v[20:21], s[14:15], s10, v23, 0
	v_mov_b32_e32 v22, v21
	v_mad_u64_u32 v[22:23], s[14:15], s11, v23, v[22:23]
	v_or_b32_e32 v25, 8, v2
	v_mov_b32_e32 v21, v22
	v_mad_u64_u32 v[22:23], s[14:15], s10, v25, 0
	v_mov_b32_e32 v24, v23
	s_lshl_b64 s[12:13], s[10:11], 7
	v_mad_u64_u32 v[24:25], s[10:11], s11, v25, v[24:25]
	v_lshlrev_b32_e32 v4, 2, v0
	v_mov_b32_e32 v23, v24
	v_lshl_or_b32 v26, v2, 7, v4
	v_lshlrev_b64 v[14:15], 2, v[14:15]
	v_lshlrev_b64 v[18:19], 2, v[18:19]
	;; [unrolled: 1-line block ×4, first 2 shown]
	s_mov_b64 s[10:11], 0
	s_mov_b64 s[14:15], 0x80
	s_branch .LBB8_3
.LBB8_2:                                ;   in Loop: Header=BB8_3 Depth=1
	s_or_b64 exec, exec, s[16:17]
	s_add_u32 s10, s10, 32
	s_addc_u32 s11, s11, 0
	v_mov_b64_e32 v[24:25], s[18:19]
	v_cmp_lt_i64_e32 vcc, s[10:11], v[24:25]
	v_lshl_add_u64 v[6:7], v[6:7], 0, s[14:15]
	v_lshl_add_u64 v[8:9], v[8:9], 0, s[14:15]
	;; [unrolled: 1-line block ×5, first 2 shown]
	s_cbranch_vccz .LBB8_20
.LBB8_3:                                ; =>This Inner Loop Header: Depth=1
	v_lshl_add_u64 v[24:25], v[2:3], 0, s[10:11]
	v_cmp_gt_i64_e32 vcc, s[18:19], v[24:25]
	s_and_b64 s[20:21], s[0:1], vcc
	s_barrier
	s_and_saveexec_b64 s[16:17], s[20:21]
	s_cbranch_execz .LBB8_5
; %bb.4:                                ;   in Loop: Header=BB8_3 Depth=1
	v_lshl_add_u64 v[28:29], v[16:17], 0, v[14:15]
	global_load_dword v28, v[28:29], off
	s_waitcnt vmcnt(0)
	ds_write_b32 v26, v28
.LBB8_5:                                ;   in Loop: Header=BB8_3 Depth=1
	s_or_b64 exec, exec, s[16:17]
	s_and_saveexec_b64 s[16:17], s[0:1]
	s_cbranch_execz .LBB8_12
; %bb.6:                                ;   in Loop: Header=BB8_3 Depth=1
	v_lshl_add_u64 v[28:29], v[24:25], 0, 8
	v_cmp_gt_i64_e32 vcc, s[18:19], v[28:29]
	s_and_saveexec_b64 s[20:21], vcc
	s_cbranch_execz .LBB8_8
; %bb.7:                                ;   in Loop: Header=BB8_3 Depth=1
	v_lshl_add_u64 v[28:29], v[16:17], 0, v[22:23]
	global_load_dword v28, v[28:29], off
	s_waitcnt vmcnt(0)
	ds_write_b32 v26, v28 offset:1024
.LBB8_8:                                ;   in Loop: Header=BB8_3 Depth=1
	s_or_b64 exec, exec, s[20:21]
	v_lshl_add_u64 v[28:29], v[24:25], 0, 16
	v_cmp_gt_i64_e32 vcc, s[18:19], v[28:29]
	s_and_saveexec_b64 s[20:21], vcc
	s_cbranch_execz .LBB8_10
; %bb.9:                                ;   in Loop: Header=BB8_3 Depth=1
	v_lshl_add_u64 v[28:29], v[16:17], 0, v[20:21]
	global_load_dword v28, v[28:29], off
	s_waitcnt vmcnt(0)
	ds_write_b32 v26, v28 offset:2048
.LBB8_10:                               ;   in Loop: Header=BB8_3 Depth=1
	s_or_b64 exec, exec, s[20:21]
	v_lshl_add_u64 v[24:25], v[24:25], 0, 24
	v_cmp_gt_i64_e32 vcc, s[18:19], v[24:25]
	s_and_b64 exec, exec, vcc
	s_cbranch_execz .LBB8_12
; %bb.11:                               ;   in Loop: Header=BB8_3 Depth=1
	v_lshl_add_u64 v[24:25], v[16:17], 0, v[18:19]
	global_load_dword v24, v[24:25], off
	s_waitcnt vmcnt(0)
	ds_write_b32 v26, v24 offset:3072
.LBB8_12:                               ;   in Loop: Header=BB8_3 Depth=1
	s_or_b64 exec, exec, s[16:17]
	v_lshl_add_u64 v[24:25], v[0:1], 0, s[10:11]
	v_cmp_le_i64_e32 vcc, s[18:19], v[24:25]
	s_nor_b64 s[20:21], vcc, s[2:3]
	s_waitcnt lgkmcnt(0)
	s_barrier
	s_and_saveexec_b64 s[16:17], s[20:21]
	s_cbranch_execnz .LBB8_16
; %bb.13:                               ;   in Loop: Header=BB8_3 Depth=1
	s_or_b64 exec, exec, s[16:17]
	s_nor_b64 s[20:21], vcc, s[4:5]
	s_and_saveexec_b64 s[16:17], s[20:21]
	s_cbranch_execnz .LBB8_17
.LBB8_14:                               ;   in Loop: Header=BB8_3 Depth=1
	s_or_b64 exec, exec, s[16:17]
	s_nor_b64 s[20:21], vcc, s[6:7]
	s_and_saveexec_b64 s[16:17], s[20:21]
	s_cbranch_execnz .LBB8_18
.LBB8_15:                               ;   in Loop: Header=BB8_3 Depth=1
	s_or_b64 exec, exec, s[16:17]
	s_nor_b64 s[20:21], vcc, s[8:9]
	s_and_saveexec_b64 s[16:17], s[20:21]
	s_cbranch_execz .LBB8_2
	s_branch .LBB8_19
.LBB8_16:                               ;   in Loop: Header=BB8_3 Depth=1
	ds_read_b32 v28, v27
	v_lshl_add_u64 v[24:25], v[6:7], 0, v[4:5]
	s_waitcnt lgkmcnt(0)
	v_mul_f32_e32 v28, s22, v28
	global_store_dword v[24:25], v28, off
	s_or_b64 exec, exec, s[16:17]
	s_nor_b64 s[20:21], vcc, s[4:5]
	s_and_saveexec_b64 s[16:17], s[20:21]
	s_cbranch_execz .LBB8_14
.LBB8_17:                               ;   in Loop: Header=BB8_3 Depth=1
	ds_read_b32 v28, v27 offset:32
	v_lshl_add_u64 v[24:25], v[8:9], 0, v[4:5]
	s_waitcnt lgkmcnt(0)
	v_mul_f32_e32 v28, s22, v28
	global_store_dword v[24:25], v28, off
	s_or_b64 exec, exec, s[16:17]
	s_nor_b64 s[20:21], vcc, s[6:7]
	s_and_saveexec_b64 s[16:17], s[20:21]
	s_cbranch_execz .LBB8_15
.LBB8_18:                               ;   in Loop: Header=BB8_3 Depth=1
	ds_read_b32 v28, v27 offset:64
	v_lshl_add_u64 v[24:25], v[10:11], 0, v[4:5]
	s_waitcnt lgkmcnt(0)
	v_mul_f32_e32 v28, s22, v28
	global_store_dword v[24:25], v28, off
	s_or_b64 exec, exec, s[16:17]
	s_nor_b64 s[20:21], vcc, s[8:9]
	s_and_saveexec_b64 s[16:17], s[20:21]
	s_cbranch_execz .LBB8_2
.LBB8_19:                               ;   in Loop: Header=BB8_3 Depth=1
	ds_read_b32 v28, v27 offset:96
	v_lshl_add_u64 v[24:25], v[12:13], 0, v[4:5]
	s_waitcnt lgkmcnt(0)
	v_mul_f32_e32 v28, s22, v28
	global_store_dword v[24:25], v28, off
	s_branch .LBB8_2
.LBB8_20:
	s_endpgm
	.section	.rodata,"a",@progbits
	.p2align	6, 0x0
	.amdhsa_kernel _ZN9rocsparseL22dense_transpose_kernelILj32ELj8ElffEEvT1_S1_T3_PKT2_lPS3_l
		.amdhsa_group_segment_fixed_size 4096
		.amdhsa_private_segment_fixed_size 0
		.amdhsa_kernarg_size 56
		.amdhsa_user_sgpr_count 2
		.amdhsa_user_sgpr_dispatch_ptr 0
		.amdhsa_user_sgpr_queue_ptr 0
		.amdhsa_user_sgpr_kernarg_segment_ptr 1
		.amdhsa_user_sgpr_dispatch_id 0
		.amdhsa_user_sgpr_kernarg_preload_length 0
		.amdhsa_user_sgpr_kernarg_preload_offset 0
		.amdhsa_user_sgpr_private_segment_size 0
		.amdhsa_uses_dynamic_stack 0
		.amdhsa_enable_private_segment 0
		.amdhsa_system_sgpr_workgroup_id_x 1
		.amdhsa_system_sgpr_workgroup_id_y 0
		.amdhsa_system_sgpr_workgroup_id_z 0
		.amdhsa_system_sgpr_workgroup_info 0
		.amdhsa_system_vgpr_workitem_id 0
		.amdhsa_next_free_vgpr 30
		.amdhsa_next_free_sgpr 23
		.amdhsa_accum_offset 32
		.amdhsa_reserve_vcc 1
		.amdhsa_float_round_mode_32 0
		.amdhsa_float_round_mode_16_64 0
		.amdhsa_float_denorm_mode_32 3
		.amdhsa_float_denorm_mode_16_64 3
		.amdhsa_dx10_clamp 1
		.amdhsa_ieee_mode 1
		.amdhsa_fp16_overflow 0
		.amdhsa_tg_split 0
		.amdhsa_exception_fp_ieee_invalid_op 0
		.amdhsa_exception_fp_denorm_src 0
		.amdhsa_exception_fp_ieee_div_zero 0
		.amdhsa_exception_fp_ieee_overflow 0
		.amdhsa_exception_fp_ieee_underflow 0
		.amdhsa_exception_fp_ieee_inexact 0
		.amdhsa_exception_int_div_zero 0
	.end_amdhsa_kernel
	.section	.text._ZN9rocsparseL22dense_transpose_kernelILj32ELj8ElffEEvT1_S1_T3_PKT2_lPS3_l,"axG",@progbits,_ZN9rocsparseL22dense_transpose_kernelILj32ELj8ElffEEvT1_S1_T3_PKT2_lPS3_l,comdat
.Lfunc_end8:
	.size	_ZN9rocsparseL22dense_transpose_kernelILj32ELj8ElffEEvT1_S1_T3_PKT2_lPS3_l, .Lfunc_end8-_ZN9rocsparseL22dense_transpose_kernelILj32ELj8ElffEEvT1_S1_T3_PKT2_lPS3_l
                                        ; -- End function
	.set _ZN9rocsparseL22dense_transpose_kernelILj32ELj8ElffEEvT1_S1_T3_PKT2_lPS3_l.num_vgpr, 30
	.set _ZN9rocsparseL22dense_transpose_kernelILj32ELj8ElffEEvT1_S1_T3_PKT2_lPS3_l.num_agpr, 0
	.set _ZN9rocsparseL22dense_transpose_kernelILj32ELj8ElffEEvT1_S1_T3_PKT2_lPS3_l.numbered_sgpr, 23
	.set _ZN9rocsparseL22dense_transpose_kernelILj32ELj8ElffEEvT1_S1_T3_PKT2_lPS3_l.num_named_barrier, 0
	.set _ZN9rocsparseL22dense_transpose_kernelILj32ELj8ElffEEvT1_S1_T3_PKT2_lPS3_l.private_seg_size, 0
	.set _ZN9rocsparseL22dense_transpose_kernelILj32ELj8ElffEEvT1_S1_T3_PKT2_lPS3_l.uses_vcc, 1
	.set _ZN9rocsparseL22dense_transpose_kernelILj32ELj8ElffEEvT1_S1_T3_PKT2_lPS3_l.uses_flat_scratch, 0
	.set _ZN9rocsparseL22dense_transpose_kernelILj32ELj8ElffEEvT1_S1_T3_PKT2_lPS3_l.has_dyn_sized_stack, 0
	.set _ZN9rocsparseL22dense_transpose_kernelILj32ELj8ElffEEvT1_S1_T3_PKT2_lPS3_l.has_recursion, 0
	.set _ZN9rocsparseL22dense_transpose_kernelILj32ELj8ElffEEvT1_S1_T3_PKT2_lPS3_l.has_indirect_call, 0
	.section	.AMDGPU.csdata,"",@progbits
; Kernel info:
; codeLenInByte = 1036
; TotalNumSgprs: 29
; NumVgprs: 30
; NumAgprs: 0
; TotalNumVgprs: 30
; ScratchSize: 0
; MemoryBound: 0
; FloatMode: 240
; IeeeMode: 1
; LDSByteSize: 4096 bytes/workgroup (compile time only)
; SGPRBlocks: 3
; VGPRBlocks: 3
; NumSGPRsForWavesPerEU: 29
; NumVGPRsForWavesPerEU: 30
; AccumOffset: 32
; Occupancy: 8
; WaveLimiterHint : 0
; COMPUTE_PGM_RSRC2:SCRATCH_EN: 0
; COMPUTE_PGM_RSRC2:USER_SGPR: 2
; COMPUTE_PGM_RSRC2:TRAP_HANDLER: 0
; COMPUTE_PGM_RSRC2:TGID_X_EN: 1
; COMPUTE_PGM_RSRC2:TGID_Y_EN: 0
; COMPUTE_PGM_RSRC2:TGID_Z_EN: 0
; COMPUTE_PGM_RSRC2:TIDIG_COMP_CNT: 0
; COMPUTE_PGM_RSRC3_GFX90A:ACCUM_OFFSET: 7
; COMPUTE_PGM_RSRC3_GFX90A:TG_SPLIT: 0
	.section	.text._ZN9rocsparseL22dense_transpose_kernelILj32ELj8ElfPKfEEvT1_S3_T3_PKT2_lPS5_l,"axG",@progbits,_ZN9rocsparseL22dense_transpose_kernelILj32ELj8ElfPKfEEvT1_S3_T3_PKT2_lPS5_l,comdat
	.globl	_ZN9rocsparseL22dense_transpose_kernelILj32ELj8ElfPKfEEvT1_S3_T3_PKT2_lPS5_l ; -- Begin function _ZN9rocsparseL22dense_transpose_kernelILj32ELj8ElfPKfEEvT1_S3_T3_PKT2_lPS5_l
	.p2align	8
	.type	_ZN9rocsparseL22dense_transpose_kernelILj32ELj8ElfPKfEEvT1_S3_T3_PKT2_lPS5_l,@function
_ZN9rocsparseL22dense_transpose_kernelILj32ELj8ElfPKfEEvT1_S3_T3_PKT2_lPS5_l: ; @_ZN9rocsparseL22dense_transpose_kernelILj32ELj8ElfPKfEEvT1_S3_T3_PKT2_lPS5_l
; %bb.0:
	s_load_dwordx8 s[8:15], s[0:1], 0x0
	s_waitcnt lgkmcnt(0)
	v_cmp_lt_i64_e64 s[4:5], s[10:11], 1
	s_and_b64 vcc, exec, s[4:5]
	s_cbranch_vccnz .LBB9_20
; %bb.1:
	s_load_dwordx8 s[16:23], s[0:1], 0x20
	s_lshl_b32 s0, s2, 5
	v_lshrrev_b32_e32 v2, 5, v0
	v_or_b32_e32 v6, s0, v2
	s_waitcnt lgkmcnt(0)
	s_load_dword s22, s[12:13], 0x0
	v_mad_u64_u32 v[14:15], s[12:13], s20, v6, 0
	v_mov_b32_e32 v7, 0
	v_and_b32_e32 v0, 31, v0
	v_lshlrev_b32_e32 v5, 2, v2
	v_mov_b32_e32 v20, v15
	v_mov_b32_e32 v19, v7
	;; [unrolled: 1-line block ×4, first 2 shown]
	v_lshl_or_b32 v27, v0, 7, v5
	v_cmp_le_i64_e64 s[2:3], s[8:9], v[6:7]
	v_or_b32_e32 v8, 8, v6
	v_mov_b32_e32 v9, v7
	v_or_b32_e32 v10, 16, v6
	v_mov_b32_e32 v11, v7
	;; [unrolled: 2-line block ×3, first 2 shown]
	v_mov_b32_e32 v5, v7
	v_mad_u64_u32 v[6:7], s[12:13], s21, v6, v[20:21]
	v_mov_b32_e32 v15, v6
	v_lshl_add_u64 v[6:7], v[14:15], 2, s[18:19]
	v_mad_u64_u32 v[14:15], s[12:13], s20, v8, 0
	v_mov_b32_e32 v20, v15
	v_cmp_le_i64_e64 s[4:5], s[8:9], v[8:9]
	v_mad_u64_u32 v[8:9], s[12:13], s21, v8, v[20:21]
	v_mov_b32_e32 v15, v8
	v_lshl_add_u64 v[8:9], v[14:15], 2, s[18:19]
	v_mad_u64_u32 v[14:15], s[12:13], s20, v10, 0
	v_mov_b32_e32 v20, v15
	v_cmp_le_i64_e64 s[6:7], s[8:9], v[10:11]
	v_mad_u64_u32 v[10:11], s[12:13], s21, v10, v[20:21]
	v_mov_b32_e32 v15, v10
	v_lshl_add_u64 v[10:11], v[14:15], 2, s[18:19]
	v_mad_u64_u32 v[14:15], s[12:13], s20, v12, 0
	v_or_b32_e32 v18, s0, v0
	v_mov_b32_e32 v20, v15
	v_cmp_gt_i64_e64 s[0:1], s[8:9], v[18:19]
	v_cmp_le_i64_e64 s[8:9], s[8:9], v[12:13]
	v_mad_u64_u32 v[12:13], s[12:13], s21, v12, v[20:21]
	v_mov_b32_e32 v15, v12
	v_lshl_add_u64 v[12:13], v[14:15], 2, s[18:19]
	v_mad_u64_u32 v[14:15], s[12:13], s16, v2, 0
	v_mov_b32_e32 v20, v15
	v_mad_u64_u32 v[20:21], s[12:13], s17, v2, v[20:21]
	v_mov_b32_e32 v16, s14
	v_mov_b32_e32 v17, s15
	v_or_b32_e32 v21, 24, v2
	v_lshl_add_u64 v[16:17], v[18:19], 2, v[16:17]
	v_mad_u64_u32 v[18:19], s[14:15], s16, v21, 0
	v_mov_b32_e32 v15, v20
	v_mov_b32_e32 v20, v19
	v_mad_u64_u32 v[20:21], s[14:15], s17, v21, v[20:21]
	v_or_b32_e32 v23, 16, v2
	v_mov_b32_e32 v19, v20
	v_mad_u64_u32 v[20:21], s[14:15], s16, v23, 0
	v_mov_b32_e32 v22, v21
	v_mad_u64_u32 v[22:23], s[14:15], s17, v23, v[22:23]
	v_or_b32_e32 v25, 8, v2
	v_mov_b32_e32 v21, v22
	v_mad_u64_u32 v[22:23], s[14:15], s16, v25, 0
	v_mov_b32_e32 v24, v23
	v_mad_u64_u32 v[24:25], s[14:15], s17, v25, v[24:25]
	v_lshlrev_b32_e32 v4, 2, v0
	v_mov_b32_e32 v23, v24
	v_lshl_or_b32 v26, v2, 7, v4
	v_lshlrev_b64 v[14:15], 2, v[14:15]
	s_lshl_b64 s[12:13], s[16:17], 7
	v_lshlrev_b64 v[18:19], 2, v[18:19]
	v_lshlrev_b64 v[20:21], 2, v[20:21]
	;; [unrolled: 1-line block ×3, first 2 shown]
	s_mov_b64 s[14:15], 0
	s_mov_b64 s[16:17], 0x80
	s_branch .LBB9_3
.LBB9_2:                                ;   in Loop: Header=BB9_3 Depth=1
	s_or_b64 exec, exec, s[18:19]
	s_add_u32 s14, s14, 32
	s_addc_u32 s15, s15, 0
	v_mov_b64_e32 v[24:25], s[10:11]
	v_cmp_lt_i64_e32 vcc, s[14:15], v[24:25]
	v_lshl_add_u64 v[6:7], v[6:7], 0, s[16:17]
	v_lshl_add_u64 v[8:9], v[8:9], 0, s[16:17]
	;; [unrolled: 1-line block ×5, first 2 shown]
	s_cbranch_vccz .LBB9_20
.LBB9_3:                                ; =>This Inner Loop Header: Depth=1
	v_lshl_add_u64 v[24:25], v[2:3], 0, s[14:15]
	v_cmp_gt_i64_e32 vcc, s[10:11], v[24:25]
	s_and_b64 s[20:21], s[0:1], vcc
	s_waitcnt lgkmcnt(0)
	s_barrier
	s_and_saveexec_b64 s[18:19], s[20:21]
	s_cbranch_execz .LBB9_5
; %bb.4:                                ;   in Loop: Header=BB9_3 Depth=1
	v_lshl_add_u64 v[28:29], v[16:17], 0, v[14:15]
	global_load_dword v28, v[28:29], off
	s_waitcnt vmcnt(0)
	ds_write_b32 v26, v28
.LBB9_5:                                ;   in Loop: Header=BB9_3 Depth=1
	s_or_b64 exec, exec, s[18:19]
	s_and_saveexec_b64 s[18:19], s[0:1]
	s_cbranch_execz .LBB9_12
; %bb.6:                                ;   in Loop: Header=BB9_3 Depth=1
	v_lshl_add_u64 v[28:29], v[24:25], 0, 8
	v_cmp_gt_i64_e32 vcc, s[10:11], v[28:29]
	s_and_saveexec_b64 s[20:21], vcc
	s_cbranch_execz .LBB9_8
; %bb.7:                                ;   in Loop: Header=BB9_3 Depth=1
	v_lshl_add_u64 v[28:29], v[16:17], 0, v[22:23]
	global_load_dword v28, v[28:29], off
	s_waitcnt vmcnt(0)
	ds_write_b32 v26, v28 offset:1024
.LBB9_8:                                ;   in Loop: Header=BB9_3 Depth=1
	s_or_b64 exec, exec, s[20:21]
	v_lshl_add_u64 v[28:29], v[24:25], 0, 16
	v_cmp_gt_i64_e32 vcc, s[10:11], v[28:29]
	s_and_saveexec_b64 s[20:21], vcc
	s_cbranch_execz .LBB9_10
; %bb.9:                                ;   in Loop: Header=BB9_3 Depth=1
	v_lshl_add_u64 v[28:29], v[16:17], 0, v[20:21]
	global_load_dword v28, v[28:29], off
	s_waitcnt vmcnt(0)
	ds_write_b32 v26, v28 offset:2048
.LBB9_10:                               ;   in Loop: Header=BB9_3 Depth=1
	s_or_b64 exec, exec, s[20:21]
	v_lshl_add_u64 v[24:25], v[24:25], 0, 24
	v_cmp_gt_i64_e32 vcc, s[10:11], v[24:25]
	s_and_b64 exec, exec, vcc
	s_cbranch_execz .LBB9_12
; %bb.11:                               ;   in Loop: Header=BB9_3 Depth=1
	v_lshl_add_u64 v[24:25], v[16:17], 0, v[18:19]
	global_load_dword v24, v[24:25], off
	s_waitcnt vmcnt(0)
	ds_write_b32 v26, v24 offset:3072
.LBB9_12:                               ;   in Loop: Header=BB9_3 Depth=1
	s_or_b64 exec, exec, s[18:19]
	v_lshl_add_u64 v[24:25], v[0:1], 0, s[14:15]
	v_cmp_le_i64_e32 vcc, s[10:11], v[24:25]
	s_nor_b64 s[20:21], vcc, s[2:3]
	s_waitcnt lgkmcnt(0)
	s_barrier
	s_and_saveexec_b64 s[18:19], s[20:21]
	s_cbranch_execnz .LBB9_16
; %bb.13:                               ;   in Loop: Header=BB9_3 Depth=1
	s_or_b64 exec, exec, s[18:19]
	s_nor_b64 s[20:21], vcc, s[4:5]
	s_and_saveexec_b64 s[18:19], s[20:21]
	s_cbranch_execnz .LBB9_17
.LBB9_14:                               ;   in Loop: Header=BB9_3 Depth=1
	s_or_b64 exec, exec, s[18:19]
	s_nor_b64 s[20:21], vcc, s[6:7]
	s_and_saveexec_b64 s[18:19], s[20:21]
	s_cbranch_execnz .LBB9_18
.LBB9_15:                               ;   in Loop: Header=BB9_3 Depth=1
	s_or_b64 exec, exec, s[18:19]
	s_nor_b64 s[20:21], vcc, s[8:9]
	s_and_saveexec_b64 s[18:19], s[20:21]
	s_cbranch_execz .LBB9_2
	s_branch .LBB9_19
.LBB9_16:                               ;   in Loop: Header=BB9_3 Depth=1
	ds_read_b32 v28, v27
	v_lshl_add_u64 v[24:25], v[6:7], 0, v[4:5]
	s_waitcnt lgkmcnt(0)
	v_mul_f32_e32 v28, s22, v28
	global_store_dword v[24:25], v28, off
	s_or_b64 exec, exec, s[18:19]
	s_nor_b64 s[20:21], vcc, s[4:5]
	s_and_saveexec_b64 s[18:19], s[20:21]
	s_cbranch_execz .LBB9_14
.LBB9_17:                               ;   in Loop: Header=BB9_3 Depth=1
	ds_read_b32 v28, v27 offset:32
	v_lshl_add_u64 v[24:25], v[8:9], 0, v[4:5]
	s_waitcnt lgkmcnt(0)
	v_mul_f32_e32 v28, s22, v28
	global_store_dword v[24:25], v28, off
	s_or_b64 exec, exec, s[18:19]
	s_nor_b64 s[20:21], vcc, s[6:7]
	s_and_saveexec_b64 s[18:19], s[20:21]
	s_cbranch_execz .LBB9_15
.LBB9_18:                               ;   in Loop: Header=BB9_3 Depth=1
	ds_read_b32 v28, v27 offset:64
	v_lshl_add_u64 v[24:25], v[10:11], 0, v[4:5]
	s_waitcnt lgkmcnt(0)
	v_mul_f32_e32 v28, s22, v28
	global_store_dword v[24:25], v28, off
	s_or_b64 exec, exec, s[18:19]
	s_nor_b64 s[20:21], vcc, s[8:9]
	s_and_saveexec_b64 s[18:19], s[20:21]
	s_cbranch_execz .LBB9_2
.LBB9_19:                               ;   in Loop: Header=BB9_3 Depth=1
	ds_read_b32 v28, v27 offset:96
	v_lshl_add_u64 v[24:25], v[12:13], 0, v[4:5]
	s_waitcnt lgkmcnt(0)
	v_mul_f32_e32 v28, s22, v28
	global_store_dword v[24:25], v28, off
	s_branch .LBB9_2
.LBB9_20:
	s_endpgm
	.section	.rodata,"a",@progbits
	.p2align	6, 0x0
	.amdhsa_kernel _ZN9rocsparseL22dense_transpose_kernelILj32ELj8ElfPKfEEvT1_S3_T3_PKT2_lPS5_l
		.amdhsa_group_segment_fixed_size 4096
		.amdhsa_private_segment_fixed_size 0
		.amdhsa_kernarg_size 56
		.amdhsa_user_sgpr_count 2
		.amdhsa_user_sgpr_dispatch_ptr 0
		.amdhsa_user_sgpr_queue_ptr 0
		.amdhsa_user_sgpr_kernarg_segment_ptr 1
		.amdhsa_user_sgpr_dispatch_id 0
		.amdhsa_user_sgpr_kernarg_preload_length 0
		.amdhsa_user_sgpr_kernarg_preload_offset 0
		.amdhsa_user_sgpr_private_segment_size 0
		.amdhsa_uses_dynamic_stack 0
		.amdhsa_enable_private_segment 0
		.amdhsa_system_sgpr_workgroup_id_x 1
		.amdhsa_system_sgpr_workgroup_id_y 0
		.amdhsa_system_sgpr_workgroup_id_z 0
		.amdhsa_system_sgpr_workgroup_info 0
		.amdhsa_system_vgpr_workitem_id 0
		.amdhsa_next_free_vgpr 30
		.amdhsa_next_free_sgpr 24
		.amdhsa_accum_offset 32
		.amdhsa_reserve_vcc 1
		.amdhsa_float_round_mode_32 0
		.amdhsa_float_round_mode_16_64 0
		.amdhsa_float_denorm_mode_32 3
		.amdhsa_float_denorm_mode_16_64 3
		.amdhsa_dx10_clamp 1
		.amdhsa_ieee_mode 1
		.amdhsa_fp16_overflow 0
		.amdhsa_tg_split 0
		.amdhsa_exception_fp_ieee_invalid_op 0
		.amdhsa_exception_fp_denorm_src 0
		.amdhsa_exception_fp_ieee_div_zero 0
		.amdhsa_exception_fp_ieee_overflow 0
		.amdhsa_exception_fp_ieee_underflow 0
		.amdhsa_exception_fp_ieee_inexact 0
		.amdhsa_exception_int_div_zero 0
	.end_amdhsa_kernel
	.section	.text._ZN9rocsparseL22dense_transpose_kernelILj32ELj8ElfPKfEEvT1_S3_T3_PKT2_lPS5_l,"axG",@progbits,_ZN9rocsparseL22dense_transpose_kernelILj32ELj8ElfPKfEEvT1_S3_T3_PKT2_lPS5_l,comdat
.Lfunc_end9:
	.size	_ZN9rocsparseL22dense_transpose_kernelILj32ELj8ElfPKfEEvT1_S3_T3_PKT2_lPS5_l, .Lfunc_end9-_ZN9rocsparseL22dense_transpose_kernelILj32ELj8ElfPKfEEvT1_S3_T3_PKT2_lPS5_l
                                        ; -- End function
	.set _ZN9rocsparseL22dense_transpose_kernelILj32ELj8ElfPKfEEvT1_S3_T3_PKT2_lPS5_l.num_vgpr, 30
	.set _ZN9rocsparseL22dense_transpose_kernelILj32ELj8ElfPKfEEvT1_S3_T3_PKT2_lPS5_l.num_agpr, 0
	.set _ZN9rocsparseL22dense_transpose_kernelILj32ELj8ElfPKfEEvT1_S3_T3_PKT2_lPS5_l.numbered_sgpr, 24
	.set _ZN9rocsparseL22dense_transpose_kernelILj32ELj8ElfPKfEEvT1_S3_T3_PKT2_lPS5_l.num_named_barrier, 0
	.set _ZN9rocsparseL22dense_transpose_kernelILj32ELj8ElfPKfEEvT1_S3_T3_PKT2_lPS5_l.private_seg_size, 0
	.set _ZN9rocsparseL22dense_transpose_kernelILj32ELj8ElfPKfEEvT1_S3_T3_PKT2_lPS5_l.uses_vcc, 1
	.set _ZN9rocsparseL22dense_transpose_kernelILj32ELj8ElfPKfEEvT1_S3_T3_PKT2_lPS5_l.uses_flat_scratch, 0
	.set _ZN9rocsparseL22dense_transpose_kernelILj32ELj8ElfPKfEEvT1_S3_T3_PKT2_lPS5_l.has_dyn_sized_stack, 0
	.set _ZN9rocsparseL22dense_transpose_kernelILj32ELj8ElfPKfEEvT1_S3_T3_PKT2_lPS5_l.has_recursion, 0
	.set _ZN9rocsparseL22dense_transpose_kernelILj32ELj8ElfPKfEEvT1_S3_T3_PKT2_lPS5_l.has_indirect_call, 0
	.section	.AMDGPU.csdata,"",@progbits
; Kernel info:
; codeLenInByte = 1040
; TotalNumSgprs: 30
; NumVgprs: 30
; NumAgprs: 0
; TotalNumVgprs: 30
; ScratchSize: 0
; MemoryBound: 0
; FloatMode: 240
; IeeeMode: 1
; LDSByteSize: 4096 bytes/workgroup (compile time only)
; SGPRBlocks: 3
; VGPRBlocks: 3
; NumSGPRsForWavesPerEU: 30
; NumVGPRsForWavesPerEU: 30
; AccumOffset: 32
; Occupancy: 8
; WaveLimiterHint : 0
; COMPUTE_PGM_RSRC2:SCRATCH_EN: 0
; COMPUTE_PGM_RSRC2:USER_SGPR: 2
; COMPUTE_PGM_RSRC2:TRAP_HANDLER: 0
; COMPUTE_PGM_RSRC2:TGID_X_EN: 1
; COMPUTE_PGM_RSRC2:TGID_Y_EN: 0
; COMPUTE_PGM_RSRC2:TGID_Z_EN: 0
; COMPUTE_PGM_RSRC2:TIDIG_COMP_CNT: 0
; COMPUTE_PGM_RSRC3_GFX90A:ACCUM_OFFSET: 7
; COMPUTE_PGM_RSRC3_GFX90A:TG_SPLIT: 0
	.section	.text._ZN9rocsparseL22dense_transpose_kernelILj32ELj8ElddEEvT1_S1_T3_PKT2_lPS3_l,"axG",@progbits,_ZN9rocsparseL22dense_transpose_kernelILj32ELj8ElddEEvT1_S1_T3_PKT2_lPS3_l,comdat
	.globl	_ZN9rocsparseL22dense_transpose_kernelILj32ELj8ElddEEvT1_S1_T3_PKT2_lPS3_l ; -- Begin function _ZN9rocsparseL22dense_transpose_kernelILj32ELj8ElddEEvT1_S1_T3_PKT2_lPS3_l
	.p2align	8
	.type	_ZN9rocsparseL22dense_transpose_kernelILj32ELj8ElddEEvT1_S1_T3_PKT2_lPS3_l,@function
_ZN9rocsparseL22dense_transpose_kernelILj32ELj8ElddEEvT1_S1_T3_PKT2_lPS3_l: ; @_ZN9rocsparseL22dense_transpose_kernelILj32ELj8ElddEEvT1_S1_T3_PKT2_lPS3_l
; %bb.0:
	s_load_dwordx8 s[8:15], s[0:1], 0x0
	s_waitcnt lgkmcnt(0)
	v_cmp_lt_i64_e64 s[4:5], s[10:11], 1
	s_and_b64 vcc, exec, s[4:5]
	s_cbranch_vccnz .LBB10_20
; %bb.1:
	s_load_dwordx8 s[16:23], s[0:1], 0x20
	s_lshl_b32 s0, s2, 5
	v_lshrrev_b32_e32 v2, 5, v0
	v_or_b32_e32 v6, s0, v2
	v_mov_b32_e32 v16, s14
	v_mov_b32_e32 v17, s15
	s_waitcnt lgkmcnt(0)
	v_mad_u64_u32 v[14:15], s[14:15], s20, v6, 0
	v_mov_b32_e32 v7, 0
	v_and_b32_e32 v0, 31, v0
	v_lshlrev_b32_e32 v5, 3, v2
	v_mov_b32_e32 v20, v15
	v_mov_b32_e32 v19, v7
	v_mov_b32_e32 v3, v7
	v_mov_b32_e32 v1, v7
	v_lshl_or_b32 v29, v0, 8, v5
	v_cmp_le_i64_e64 s[2:3], s[8:9], v[6:7]
	v_or_b32_e32 v8, 8, v6
	v_mov_b32_e32 v9, v7
	v_or_b32_e32 v10, 16, v6
	v_mov_b32_e32 v11, v7
	;; [unrolled: 2-line block ×3, first 2 shown]
	v_mov_b32_e32 v5, v7
	v_mad_u64_u32 v[6:7], s[14:15], s21, v6, v[20:21]
	v_mov_b32_e32 v15, v6
	v_lshl_add_u64 v[6:7], v[14:15], 3, s[18:19]
	v_mad_u64_u32 v[14:15], s[14:15], s20, v8, 0
	v_mov_b32_e32 v20, v15
	v_cmp_le_i64_e64 s[4:5], s[8:9], v[8:9]
	v_mad_u64_u32 v[8:9], s[14:15], s21, v8, v[20:21]
	v_mov_b32_e32 v15, v8
	v_lshl_add_u64 v[8:9], v[14:15], 3, s[18:19]
	v_mad_u64_u32 v[14:15], s[14:15], s20, v10, 0
	v_mov_b32_e32 v20, v15
	v_cmp_le_i64_e64 s[6:7], s[8:9], v[10:11]
	v_mad_u64_u32 v[10:11], s[14:15], s21, v10, v[20:21]
	v_mov_b32_e32 v15, v10
	v_lshl_add_u64 v[10:11], v[14:15], 3, s[18:19]
	v_mad_u64_u32 v[14:15], s[14:15], s20, v12, 0
	v_or_b32_e32 v18, s0, v0
	v_mov_b32_e32 v20, v15
	v_cmp_gt_i64_e64 s[0:1], s[8:9], v[18:19]
	v_cmp_le_i64_e64 s[8:9], s[8:9], v[12:13]
	v_mad_u64_u32 v[12:13], s[14:15], s21, v12, v[20:21]
	v_mov_b32_e32 v15, v12
	v_lshl_add_u64 v[12:13], v[14:15], 3, s[18:19]
	v_mad_u64_u32 v[14:15], s[14:15], s16, v2, 0
	v_mov_b32_e32 v20, v15
	v_mad_u64_u32 v[20:21], s[14:15], s17, v2, v[20:21]
	v_or_b32_e32 v21, 24, v2
	v_lshl_add_u64 v[16:17], v[18:19], 3, v[16:17]
	v_mad_u64_u32 v[18:19], s[18:19], s16, v21, 0
	v_mov_b32_e32 v15, v20
	v_mov_b32_e32 v20, v19
	v_mad_u64_u32 v[20:21], s[18:19], s17, v21, v[20:21]
	v_or_b32_e32 v23, 16, v2
	v_mov_b32_e32 v19, v20
	v_mad_u64_u32 v[20:21], s[18:19], s16, v23, 0
	v_mov_b32_e32 v22, v21
	v_mad_u64_u32 v[22:23], s[18:19], s17, v23, v[22:23]
	v_or_b32_e32 v25, 8, v2
	v_mov_b32_e32 v21, v22
	v_mad_u64_u32 v[22:23], s[18:19], s16, v25, 0
	v_mov_b32_e32 v24, v23
	s_lshl_b64 s[14:15], s[16:17], 8
	v_mad_u64_u32 v[24:25], s[16:17], s17, v25, v[24:25]
	v_lshlrev_b32_e32 v4, 3, v0
	v_mov_b32_e32 v23, v24
	v_lshl_or_b32 v28, v2, 8, v4
	v_lshlrev_b64 v[14:15], 3, v[14:15]
	v_lshlrev_b64 v[18:19], 3, v[18:19]
	;; [unrolled: 1-line block ×4, first 2 shown]
	s_mov_b64 s[16:17], 0
	s_mov_b64 s[18:19], 0x100
	v_mov_b64_e32 v[24:25], s[10:11]
	s_branch .LBB10_3
.LBB10_2:                               ;   in Loop: Header=BB10_3 Depth=1
	s_or_b64 exec, exec, s[20:21]
	s_add_u32 s16, s16, 32
	s_addc_u32 s17, s17, 0
	v_cmp_lt_i64_e32 vcc, s[16:17], v[24:25]
	v_lshl_add_u64 v[6:7], v[6:7], 0, s[18:19]
	v_lshl_add_u64 v[8:9], v[8:9], 0, s[18:19]
	;; [unrolled: 1-line block ×5, first 2 shown]
	s_cbranch_vccz .LBB10_20
.LBB10_3:                               ; =>This Inner Loop Header: Depth=1
	v_lshl_add_u64 v[26:27], v[2:3], 0, s[16:17]
	v_cmp_gt_i64_e32 vcc, s[10:11], v[26:27]
	s_and_b64 s[22:23], s[0:1], vcc
	s_barrier
	s_and_saveexec_b64 s[20:21], s[22:23]
	s_cbranch_execz .LBB10_5
; %bb.4:                                ;   in Loop: Header=BB10_3 Depth=1
	v_lshl_add_u64 v[30:31], v[16:17], 0, v[14:15]
	global_load_dwordx2 v[30:31], v[30:31], off
	s_waitcnt vmcnt(0)
	ds_write_b64 v28, v[30:31]
.LBB10_5:                               ;   in Loop: Header=BB10_3 Depth=1
	s_or_b64 exec, exec, s[20:21]
	s_and_saveexec_b64 s[20:21], s[0:1]
	s_cbranch_execz .LBB10_12
; %bb.6:                                ;   in Loop: Header=BB10_3 Depth=1
	v_lshl_add_u64 v[30:31], v[26:27], 0, 8
	v_cmp_gt_i64_e32 vcc, s[10:11], v[30:31]
	s_and_saveexec_b64 s[22:23], vcc
	s_cbranch_execz .LBB10_8
; %bb.7:                                ;   in Loop: Header=BB10_3 Depth=1
	v_lshl_add_u64 v[30:31], v[16:17], 0, v[22:23]
	global_load_dwordx2 v[30:31], v[30:31], off
	s_waitcnt vmcnt(0)
	ds_write_b64 v28, v[30:31] offset:2048
.LBB10_8:                               ;   in Loop: Header=BB10_3 Depth=1
	s_or_b64 exec, exec, s[22:23]
	v_lshl_add_u64 v[30:31], v[26:27], 0, 16
	v_cmp_gt_i64_e32 vcc, s[10:11], v[30:31]
	s_and_saveexec_b64 s[22:23], vcc
	s_cbranch_execz .LBB10_10
; %bb.9:                                ;   in Loop: Header=BB10_3 Depth=1
	v_lshl_add_u64 v[30:31], v[16:17], 0, v[20:21]
	global_load_dwordx2 v[30:31], v[30:31], off
	s_waitcnt vmcnt(0)
	ds_write_b64 v28, v[30:31] offset:4096
.LBB10_10:                              ;   in Loop: Header=BB10_3 Depth=1
	s_or_b64 exec, exec, s[22:23]
	v_lshl_add_u64 v[26:27], v[26:27], 0, 24
	v_cmp_gt_i64_e32 vcc, s[10:11], v[26:27]
	s_and_b64 exec, exec, vcc
	s_cbranch_execz .LBB10_12
; %bb.11:                               ;   in Loop: Header=BB10_3 Depth=1
	v_lshl_add_u64 v[26:27], v[16:17], 0, v[18:19]
	global_load_dwordx2 v[26:27], v[26:27], off
	s_waitcnt vmcnt(0)
	ds_write_b64 v28, v[26:27] offset:6144
.LBB10_12:                              ;   in Loop: Header=BB10_3 Depth=1
	s_or_b64 exec, exec, s[20:21]
	v_lshl_add_u64 v[26:27], v[0:1], 0, s[16:17]
	v_cmp_le_i64_e32 vcc, s[10:11], v[26:27]
	s_nor_b64 s[22:23], vcc, s[2:3]
	s_waitcnt lgkmcnt(0)
	s_barrier
	s_and_saveexec_b64 s[20:21], s[22:23]
	s_cbranch_execnz .LBB10_16
; %bb.13:                               ;   in Loop: Header=BB10_3 Depth=1
	s_or_b64 exec, exec, s[20:21]
	s_nor_b64 s[22:23], vcc, s[4:5]
	s_and_saveexec_b64 s[20:21], s[22:23]
	s_cbranch_execnz .LBB10_17
.LBB10_14:                              ;   in Loop: Header=BB10_3 Depth=1
	s_or_b64 exec, exec, s[20:21]
	s_nor_b64 s[22:23], vcc, s[6:7]
	s_and_saveexec_b64 s[20:21], s[22:23]
	s_cbranch_execnz .LBB10_18
.LBB10_15:                              ;   in Loop: Header=BB10_3 Depth=1
	s_or_b64 exec, exec, s[20:21]
	s_nor_b64 s[22:23], vcc, s[8:9]
	s_and_saveexec_b64 s[20:21], s[22:23]
	s_cbranch_execz .LBB10_2
	s_branch .LBB10_19
.LBB10_16:                              ;   in Loop: Header=BB10_3 Depth=1
	ds_read_b64 v[26:27], v29
	v_lshl_add_u64 v[30:31], v[6:7], 0, v[4:5]
	s_waitcnt lgkmcnt(0)
	v_mul_f64 v[26:27], s[12:13], v[26:27]
	global_store_dwordx2 v[30:31], v[26:27], off
	s_or_b64 exec, exec, s[20:21]
	s_nor_b64 s[22:23], vcc, s[4:5]
	s_and_saveexec_b64 s[20:21], s[22:23]
	s_cbranch_execz .LBB10_14
.LBB10_17:                              ;   in Loop: Header=BB10_3 Depth=1
	ds_read_b64 v[26:27], v29 offset:64
	v_lshl_add_u64 v[30:31], v[8:9], 0, v[4:5]
	s_waitcnt lgkmcnt(0)
	v_mul_f64 v[26:27], s[12:13], v[26:27]
	global_store_dwordx2 v[30:31], v[26:27], off
	s_or_b64 exec, exec, s[20:21]
	s_nor_b64 s[22:23], vcc, s[6:7]
	s_and_saveexec_b64 s[20:21], s[22:23]
	s_cbranch_execz .LBB10_15
.LBB10_18:                              ;   in Loop: Header=BB10_3 Depth=1
	ds_read_b64 v[26:27], v29 offset:128
	v_lshl_add_u64 v[30:31], v[10:11], 0, v[4:5]
	s_waitcnt lgkmcnt(0)
	v_mul_f64 v[26:27], s[12:13], v[26:27]
	global_store_dwordx2 v[30:31], v[26:27], off
	s_or_b64 exec, exec, s[20:21]
	s_nor_b64 s[22:23], vcc, s[8:9]
	s_and_saveexec_b64 s[20:21], s[22:23]
	s_cbranch_execz .LBB10_2
.LBB10_19:                              ;   in Loop: Header=BB10_3 Depth=1
	ds_read_b64 v[26:27], v29 offset:192
	v_lshl_add_u64 v[30:31], v[12:13], 0, v[4:5]
	s_waitcnt lgkmcnt(0)
	v_mul_f64 v[26:27], s[12:13], v[26:27]
	global_store_dwordx2 v[30:31], v[26:27], off
	s_branch .LBB10_2
.LBB10_20:
	s_endpgm
	.section	.rodata,"a",@progbits
	.p2align	6, 0x0
	.amdhsa_kernel _ZN9rocsparseL22dense_transpose_kernelILj32ELj8ElddEEvT1_S1_T3_PKT2_lPS3_l
		.amdhsa_group_segment_fixed_size 8192
		.amdhsa_private_segment_fixed_size 0
		.amdhsa_kernarg_size 56
		.amdhsa_user_sgpr_count 2
		.amdhsa_user_sgpr_dispatch_ptr 0
		.amdhsa_user_sgpr_queue_ptr 0
		.amdhsa_user_sgpr_kernarg_segment_ptr 1
		.amdhsa_user_sgpr_dispatch_id 0
		.amdhsa_user_sgpr_kernarg_preload_length 0
		.amdhsa_user_sgpr_kernarg_preload_offset 0
		.amdhsa_user_sgpr_private_segment_size 0
		.amdhsa_uses_dynamic_stack 0
		.amdhsa_enable_private_segment 0
		.amdhsa_system_sgpr_workgroup_id_x 1
		.amdhsa_system_sgpr_workgroup_id_y 0
		.amdhsa_system_sgpr_workgroup_id_z 0
		.amdhsa_system_sgpr_workgroup_info 0
		.amdhsa_system_vgpr_workitem_id 0
		.amdhsa_next_free_vgpr 32
		.amdhsa_next_free_sgpr 24
		.amdhsa_accum_offset 32
		.amdhsa_reserve_vcc 1
		.amdhsa_float_round_mode_32 0
		.amdhsa_float_round_mode_16_64 0
		.amdhsa_float_denorm_mode_32 3
		.amdhsa_float_denorm_mode_16_64 3
		.amdhsa_dx10_clamp 1
		.amdhsa_ieee_mode 1
		.amdhsa_fp16_overflow 0
		.amdhsa_tg_split 0
		.amdhsa_exception_fp_ieee_invalid_op 0
		.amdhsa_exception_fp_denorm_src 0
		.amdhsa_exception_fp_ieee_div_zero 0
		.amdhsa_exception_fp_ieee_overflow 0
		.amdhsa_exception_fp_ieee_underflow 0
		.amdhsa_exception_fp_ieee_inexact 0
		.amdhsa_exception_int_div_zero 0
	.end_amdhsa_kernel
	.section	.text._ZN9rocsparseL22dense_transpose_kernelILj32ELj8ElddEEvT1_S1_T3_PKT2_lPS3_l,"axG",@progbits,_ZN9rocsparseL22dense_transpose_kernelILj32ELj8ElddEEvT1_S1_T3_PKT2_lPS3_l,comdat
.Lfunc_end10:
	.size	_ZN9rocsparseL22dense_transpose_kernelILj32ELj8ElddEEvT1_S1_T3_PKT2_lPS3_l, .Lfunc_end10-_ZN9rocsparseL22dense_transpose_kernelILj32ELj8ElddEEvT1_S1_T3_PKT2_lPS3_l
                                        ; -- End function
	.set _ZN9rocsparseL22dense_transpose_kernelILj32ELj8ElddEEvT1_S1_T3_PKT2_lPS3_l.num_vgpr, 32
	.set _ZN9rocsparseL22dense_transpose_kernelILj32ELj8ElddEEvT1_S1_T3_PKT2_lPS3_l.num_agpr, 0
	.set _ZN9rocsparseL22dense_transpose_kernelILj32ELj8ElddEEvT1_S1_T3_PKT2_lPS3_l.numbered_sgpr, 24
	.set _ZN9rocsparseL22dense_transpose_kernelILj32ELj8ElddEEvT1_S1_T3_PKT2_lPS3_l.num_named_barrier, 0
	.set _ZN9rocsparseL22dense_transpose_kernelILj32ELj8ElddEEvT1_S1_T3_PKT2_lPS3_l.private_seg_size, 0
	.set _ZN9rocsparseL22dense_transpose_kernelILj32ELj8ElddEEvT1_S1_T3_PKT2_lPS3_l.uses_vcc, 1
	.set _ZN9rocsparseL22dense_transpose_kernelILj32ELj8ElddEEvT1_S1_T3_PKT2_lPS3_l.uses_flat_scratch, 0
	.set _ZN9rocsparseL22dense_transpose_kernelILj32ELj8ElddEEvT1_S1_T3_PKT2_lPS3_l.has_dyn_sized_stack, 0
	.set _ZN9rocsparseL22dense_transpose_kernelILj32ELj8ElddEEvT1_S1_T3_PKT2_lPS3_l.has_recursion, 0
	.set _ZN9rocsparseL22dense_transpose_kernelILj32ELj8ElddEEvT1_S1_T3_PKT2_lPS3_l.has_indirect_call, 0
	.section	.AMDGPU.csdata,"",@progbits
; Kernel info:
; codeLenInByte = 1044
; TotalNumSgprs: 30
; NumVgprs: 32
; NumAgprs: 0
; TotalNumVgprs: 32
; ScratchSize: 0
; MemoryBound: 0
; FloatMode: 240
; IeeeMode: 1
; LDSByteSize: 8192 bytes/workgroup (compile time only)
; SGPRBlocks: 3
; VGPRBlocks: 3
; NumSGPRsForWavesPerEU: 30
; NumVGPRsForWavesPerEU: 32
; AccumOffset: 32
; Occupancy: 8
; WaveLimiterHint : 0
; COMPUTE_PGM_RSRC2:SCRATCH_EN: 0
; COMPUTE_PGM_RSRC2:USER_SGPR: 2
; COMPUTE_PGM_RSRC2:TRAP_HANDLER: 0
; COMPUTE_PGM_RSRC2:TGID_X_EN: 1
; COMPUTE_PGM_RSRC2:TGID_Y_EN: 0
; COMPUTE_PGM_RSRC2:TGID_Z_EN: 0
; COMPUTE_PGM_RSRC2:TIDIG_COMP_CNT: 0
; COMPUTE_PGM_RSRC3_GFX90A:ACCUM_OFFSET: 7
; COMPUTE_PGM_RSRC3_GFX90A:TG_SPLIT: 0
	.section	.text._ZN9rocsparseL22dense_transpose_kernelILj32ELj8EldPKdEEvT1_S3_T3_PKT2_lPS5_l,"axG",@progbits,_ZN9rocsparseL22dense_transpose_kernelILj32ELj8EldPKdEEvT1_S3_T3_PKT2_lPS5_l,comdat
	.globl	_ZN9rocsparseL22dense_transpose_kernelILj32ELj8EldPKdEEvT1_S3_T3_PKT2_lPS5_l ; -- Begin function _ZN9rocsparseL22dense_transpose_kernelILj32ELj8EldPKdEEvT1_S3_T3_PKT2_lPS5_l
	.p2align	8
	.type	_ZN9rocsparseL22dense_transpose_kernelILj32ELj8EldPKdEEvT1_S3_T3_PKT2_lPS5_l,@function
_ZN9rocsparseL22dense_transpose_kernelILj32ELj8EldPKdEEvT1_S3_T3_PKT2_lPS5_l: ; @_ZN9rocsparseL22dense_transpose_kernelILj32ELj8EldPKdEEvT1_S3_T3_PKT2_lPS5_l
; %bb.0:
	s_load_dwordx8 s[8:15], s[0:1], 0x0
	s_waitcnt lgkmcnt(0)
	v_cmp_lt_i64_e64 s[4:5], s[10:11], 1
	s_and_b64 vcc, exec, s[4:5]
	s_cbranch_vccnz .LBB11_20
; %bb.1:
	s_load_dwordx8 s[16:23], s[0:1], 0x20
	s_lshl_b32 s0, s2, 5
	v_lshrrev_b32_e32 v2, 5, v0
	v_or_b32_e32 v6, s0, v2
	v_mov_b32_e32 v16, s14
	v_mov_b32_e32 v17, s15
	s_waitcnt lgkmcnt(0)
	v_mad_u64_u32 v[14:15], s[14:15], s20, v6, 0
	v_mov_b32_e32 v7, 0
	v_and_b32_e32 v0, 31, v0
	v_lshlrev_b32_e32 v5, 3, v2
	v_mov_b32_e32 v20, v15
	v_mov_b32_e32 v19, v7
	;; [unrolled: 1-line block ×4, first 2 shown]
	v_lshl_or_b32 v29, v0, 8, v5
	v_cmp_le_i64_e64 s[2:3], s[8:9], v[6:7]
	v_or_b32_e32 v8, 8, v6
	v_mov_b32_e32 v9, v7
	v_or_b32_e32 v10, 16, v6
	v_mov_b32_e32 v11, v7
	;; [unrolled: 2-line block ×3, first 2 shown]
	v_mov_b32_e32 v5, v7
	v_mad_u64_u32 v[6:7], s[14:15], s21, v6, v[20:21]
	v_mov_b32_e32 v15, v6
	v_lshl_add_u64 v[6:7], v[14:15], 3, s[18:19]
	v_mad_u64_u32 v[14:15], s[14:15], s20, v8, 0
	v_mov_b32_e32 v20, v15
	v_cmp_le_i64_e64 s[4:5], s[8:9], v[8:9]
	v_mad_u64_u32 v[8:9], s[14:15], s21, v8, v[20:21]
	v_mov_b32_e32 v15, v8
	v_lshl_add_u64 v[8:9], v[14:15], 3, s[18:19]
	v_mad_u64_u32 v[14:15], s[14:15], s20, v10, 0
	v_mov_b32_e32 v20, v15
	v_cmp_le_i64_e64 s[6:7], s[8:9], v[10:11]
	v_mad_u64_u32 v[10:11], s[14:15], s21, v10, v[20:21]
	v_mov_b32_e32 v15, v10
	v_lshl_add_u64 v[10:11], v[14:15], 3, s[18:19]
	v_mad_u64_u32 v[14:15], s[14:15], s20, v12, 0
	v_or_b32_e32 v18, s0, v0
	v_mov_b32_e32 v20, v15
	v_cmp_gt_i64_e64 s[0:1], s[8:9], v[18:19]
	v_cmp_le_i64_e64 s[8:9], s[8:9], v[12:13]
	v_mad_u64_u32 v[12:13], s[14:15], s21, v12, v[20:21]
	v_mov_b32_e32 v15, v12
	v_lshl_add_u64 v[12:13], v[14:15], 3, s[18:19]
	v_mad_u64_u32 v[14:15], s[14:15], s16, v2, 0
	v_mov_b32_e32 v20, v15
	v_mad_u64_u32 v[20:21], s[14:15], s17, v2, v[20:21]
	v_or_b32_e32 v21, 24, v2
	v_lshl_add_u64 v[16:17], v[18:19], 3, v[16:17]
	v_mad_u64_u32 v[18:19], s[18:19], s16, v21, 0
	v_mov_b32_e32 v15, v20
	v_mov_b32_e32 v20, v19
	v_mad_u64_u32 v[20:21], s[18:19], s17, v21, v[20:21]
	v_or_b32_e32 v23, 16, v2
	v_mov_b32_e32 v19, v20
	v_mad_u64_u32 v[20:21], s[18:19], s16, v23, 0
	v_mov_b32_e32 v22, v21
	v_mad_u64_u32 v[22:23], s[18:19], s17, v23, v[22:23]
	v_or_b32_e32 v25, 8, v2
	s_load_dwordx2 s[12:13], s[12:13], 0x0
	v_mov_b32_e32 v21, v22
	v_mad_u64_u32 v[22:23], s[18:19], s16, v25, 0
	v_mov_b32_e32 v24, v23
	s_lshl_b64 s[14:15], s[16:17], 8
	v_mad_u64_u32 v[24:25], s[16:17], s17, v25, v[24:25]
	v_lshlrev_b32_e32 v4, 3, v0
	v_mov_b32_e32 v23, v24
	v_lshl_or_b32 v28, v2, 8, v4
	v_lshlrev_b64 v[14:15], 3, v[14:15]
	v_lshlrev_b64 v[18:19], 3, v[18:19]
	;; [unrolled: 1-line block ×4, first 2 shown]
	s_mov_b64 s[16:17], 0
	s_mov_b64 s[18:19], 0x100
	v_mov_b64_e32 v[24:25], s[10:11]
	s_branch .LBB11_3
.LBB11_2:                               ;   in Loop: Header=BB11_3 Depth=1
	s_or_b64 exec, exec, s[20:21]
	s_add_u32 s16, s16, 32
	s_addc_u32 s17, s17, 0
	v_cmp_lt_i64_e32 vcc, s[16:17], v[24:25]
	v_lshl_add_u64 v[6:7], v[6:7], 0, s[18:19]
	v_lshl_add_u64 v[8:9], v[8:9], 0, s[18:19]
	;; [unrolled: 1-line block ×5, first 2 shown]
	s_cbranch_vccz .LBB11_20
.LBB11_3:                               ; =>This Inner Loop Header: Depth=1
	v_lshl_add_u64 v[26:27], v[2:3], 0, s[16:17]
	v_cmp_gt_i64_e32 vcc, s[10:11], v[26:27]
	s_and_b64 s[22:23], s[0:1], vcc
	s_waitcnt lgkmcnt(0)
	s_barrier
	s_and_saveexec_b64 s[20:21], s[22:23]
	s_cbranch_execz .LBB11_5
; %bb.4:                                ;   in Loop: Header=BB11_3 Depth=1
	v_lshl_add_u64 v[30:31], v[16:17], 0, v[14:15]
	global_load_dwordx2 v[30:31], v[30:31], off
	s_waitcnt vmcnt(0)
	ds_write_b64 v28, v[30:31]
.LBB11_5:                               ;   in Loop: Header=BB11_3 Depth=1
	s_or_b64 exec, exec, s[20:21]
	s_and_saveexec_b64 s[20:21], s[0:1]
	s_cbranch_execz .LBB11_12
; %bb.6:                                ;   in Loop: Header=BB11_3 Depth=1
	v_lshl_add_u64 v[30:31], v[26:27], 0, 8
	v_cmp_gt_i64_e32 vcc, s[10:11], v[30:31]
	s_and_saveexec_b64 s[22:23], vcc
	s_cbranch_execz .LBB11_8
; %bb.7:                                ;   in Loop: Header=BB11_3 Depth=1
	v_lshl_add_u64 v[30:31], v[16:17], 0, v[22:23]
	global_load_dwordx2 v[30:31], v[30:31], off
	s_waitcnt vmcnt(0)
	ds_write_b64 v28, v[30:31] offset:2048
.LBB11_8:                               ;   in Loop: Header=BB11_3 Depth=1
	s_or_b64 exec, exec, s[22:23]
	v_lshl_add_u64 v[30:31], v[26:27], 0, 16
	v_cmp_gt_i64_e32 vcc, s[10:11], v[30:31]
	s_and_saveexec_b64 s[22:23], vcc
	s_cbranch_execz .LBB11_10
; %bb.9:                                ;   in Loop: Header=BB11_3 Depth=1
	v_lshl_add_u64 v[30:31], v[16:17], 0, v[20:21]
	global_load_dwordx2 v[30:31], v[30:31], off
	s_waitcnt vmcnt(0)
	ds_write_b64 v28, v[30:31] offset:4096
.LBB11_10:                              ;   in Loop: Header=BB11_3 Depth=1
	s_or_b64 exec, exec, s[22:23]
	v_lshl_add_u64 v[26:27], v[26:27], 0, 24
	v_cmp_gt_i64_e32 vcc, s[10:11], v[26:27]
	s_and_b64 exec, exec, vcc
	s_cbranch_execz .LBB11_12
; %bb.11:                               ;   in Loop: Header=BB11_3 Depth=1
	v_lshl_add_u64 v[26:27], v[16:17], 0, v[18:19]
	global_load_dwordx2 v[26:27], v[26:27], off
	s_waitcnt vmcnt(0)
	ds_write_b64 v28, v[26:27] offset:6144
.LBB11_12:                              ;   in Loop: Header=BB11_3 Depth=1
	s_or_b64 exec, exec, s[20:21]
	v_lshl_add_u64 v[26:27], v[0:1], 0, s[16:17]
	v_cmp_le_i64_e32 vcc, s[10:11], v[26:27]
	s_nor_b64 s[22:23], vcc, s[2:3]
	s_waitcnt lgkmcnt(0)
	s_barrier
	s_and_saveexec_b64 s[20:21], s[22:23]
	s_cbranch_execnz .LBB11_16
; %bb.13:                               ;   in Loop: Header=BB11_3 Depth=1
	s_or_b64 exec, exec, s[20:21]
	s_nor_b64 s[22:23], vcc, s[4:5]
	s_and_saveexec_b64 s[20:21], s[22:23]
	s_cbranch_execnz .LBB11_17
.LBB11_14:                              ;   in Loop: Header=BB11_3 Depth=1
	s_or_b64 exec, exec, s[20:21]
	s_nor_b64 s[22:23], vcc, s[6:7]
	s_and_saveexec_b64 s[20:21], s[22:23]
	s_cbranch_execnz .LBB11_18
.LBB11_15:                              ;   in Loop: Header=BB11_3 Depth=1
	s_or_b64 exec, exec, s[20:21]
	s_nor_b64 s[22:23], vcc, s[8:9]
	s_and_saveexec_b64 s[20:21], s[22:23]
	s_cbranch_execz .LBB11_2
	s_branch .LBB11_19
.LBB11_16:                              ;   in Loop: Header=BB11_3 Depth=1
	ds_read_b64 v[26:27], v29
	v_lshl_add_u64 v[30:31], v[6:7], 0, v[4:5]
	s_waitcnt lgkmcnt(0)
	v_mul_f64 v[26:27], s[12:13], v[26:27]
	global_store_dwordx2 v[30:31], v[26:27], off
	s_or_b64 exec, exec, s[20:21]
	s_nor_b64 s[22:23], vcc, s[4:5]
	s_and_saveexec_b64 s[20:21], s[22:23]
	s_cbranch_execz .LBB11_14
.LBB11_17:                              ;   in Loop: Header=BB11_3 Depth=1
	ds_read_b64 v[26:27], v29 offset:64
	v_lshl_add_u64 v[30:31], v[8:9], 0, v[4:5]
	s_waitcnt lgkmcnt(0)
	v_mul_f64 v[26:27], s[12:13], v[26:27]
	global_store_dwordx2 v[30:31], v[26:27], off
	s_or_b64 exec, exec, s[20:21]
	s_nor_b64 s[22:23], vcc, s[6:7]
	s_and_saveexec_b64 s[20:21], s[22:23]
	s_cbranch_execz .LBB11_15
.LBB11_18:                              ;   in Loop: Header=BB11_3 Depth=1
	ds_read_b64 v[26:27], v29 offset:128
	v_lshl_add_u64 v[30:31], v[10:11], 0, v[4:5]
	s_waitcnt lgkmcnt(0)
	v_mul_f64 v[26:27], s[12:13], v[26:27]
	global_store_dwordx2 v[30:31], v[26:27], off
	s_or_b64 exec, exec, s[20:21]
	s_nor_b64 s[22:23], vcc, s[8:9]
	s_and_saveexec_b64 s[20:21], s[22:23]
	s_cbranch_execz .LBB11_2
.LBB11_19:                              ;   in Loop: Header=BB11_3 Depth=1
	ds_read_b64 v[26:27], v29 offset:192
	v_lshl_add_u64 v[30:31], v[12:13], 0, v[4:5]
	s_waitcnt lgkmcnt(0)
	v_mul_f64 v[26:27], s[12:13], v[26:27]
	global_store_dwordx2 v[30:31], v[26:27], off
	s_branch .LBB11_2
.LBB11_20:
	s_endpgm
	.section	.rodata,"a",@progbits
	.p2align	6, 0x0
	.amdhsa_kernel _ZN9rocsparseL22dense_transpose_kernelILj32ELj8EldPKdEEvT1_S3_T3_PKT2_lPS5_l
		.amdhsa_group_segment_fixed_size 8192
		.amdhsa_private_segment_fixed_size 0
		.amdhsa_kernarg_size 56
		.amdhsa_user_sgpr_count 2
		.amdhsa_user_sgpr_dispatch_ptr 0
		.amdhsa_user_sgpr_queue_ptr 0
		.amdhsa_user_sgpr_kernarg_segment_ptr 1
		.amdhsa_user_sgpr_dispatch_id 0
		.amdhsa_user_sgpr_kernarg_preload_length 0
		.amdhsa_user_sgpr_kernarg_preload_offset 0
		.amdhsa_user_sgpr_private_segment_size 0
		.amdhsa_uses_dynamic_stack 0
		.amdhsa_enable_private_segment 0
		.amdhsa_system_sgpr_workgroup_id_x 1
		.amdhsa_system_sgpr_workgroup_id_y 0
		.amdhsa_system_sgpr_workgroup_id_z 0
		.amdhsa_system_sgpr_workgroup_info 0
		.amdhsa_system_vgpr_workitem_id 0
		.amdhsa_next_free_vgpr 32
		.amdhsa_next_free_sgpr 24
		.amdhsa_accum_offset 32
		.amdhsa_reserve_vcc 1
		.amdhsa_float_round_mode_32 0
		.amdhsa_float_round_mode_16_64 0
		.amdhsa_float_denorm_mode_32 3
		.amdhsa_float_denorm_mode_16_64 3
		.amdhsa_dx10_clamp 1
		.amdhsa_ieee_mode 1
		.amdhsa_fp16_overflow 0
		.amdhsa_tg_split 0
		.amdhsa_exception_fp_ieee_invalid_op 0
		.amdhsa_exception_fp_denorm_src 0
		.amdhsa_exception_fp_ieee_div_zero 0
		.amdhsa_exception_fp_ieee_overflow 0
		.amdhsa_exception_fp_ieee_underflow 0
		.amdhsa_exception_fp_ieee_inexact 0
		.amdhsa_exception_int_div_zero 0
	.end_amdhsa_kernel
	.section	.text._ZN9rocsparseL22dense_transpose_kernelILj32ELj8EldPKdEEvT1_S3_T3_PKT2_lPS5_l,"axG",@progbits,_ZN9rocsparseL22dense_transpose_kernelILj32ELj8EldPKdEEvT1_S3_T3_PKT2_lPS5_l,comdat
.Lfunc_end11:
	.size	_ZN9rocsparseL22dense_transpose_kernelILj32ELj8EldPKdEEvT1_S3_T3_PKT2_lPS5_l, .Lfunc_end11-_ZN9rocsparseL22dense_transpose_kernelILj32ELj8EldPKdEEvT1_S3_T3_PKT2_lPS5_l
                                        ; -- End function
	.set _ZN9rocsparseL22dense_transpose_kernelILj32ELj8EldPKdEEvT1_S3_T3_PKT2_lPS5_l.num_vgpr, 32
	.set _ZN9rocsparseL22dense_transpose_kernelILj32ELj8EldPKdEEvT1_S3_T3_PKT2_lPS5_l.num_agpr, 0
	.set _ZN9rocsparseL22dense_transpose_kernelILj32ELj8EldPKdEEvT1_S3_T3_PKT2_lPS5_l.numbered_sgpr, 24
	.set _ZN9rocsparseL22dense_transpose_kernelILj32ELj8EldPKdEEvT1_S3_T3_PKT2_lPS5_l.num_named_barrier, 0
	.set _ZN9rocsparseL22dense_transpose_kernelILj32ELj8EldPKdEEvT1_S3_T3_PKT2_lPS5_l.private_seg_size, 0
	.set _ZN9rocsparseL22dense_transpose_kernelILj32ELj8EldPKdEEvT1_S3_T3_PKT2_lPS5_l.uses_vcc, 1
	.set _ZN9rocsparseL22dense_transpose_kernelILj32ELj8EldPKdEEvT1_S3_T3_PKT2_lPS5_l.uses_flat_scratch, 0
	.set _ZN9rocsparseL22dense_transpose_kernelILj32ELj8EldPKdEEvT1_S3_T3_PKT2_lPS5_l.has_dyn_sized_stack, 0
	.set _ZN9rocsparseL22dense_transpose_kernelILj32ELj8EldPKdEEvT1_S3_T3_PKT2_lPS5_l.has_recursion, 0
	.set _ZN9rocsparseL22dense_transpose_kernelILj32ELj8EldPKdEEvT1_S3_T3_PKT2_lPS5_l.has_indirect_call, 0
	.section	.AMDGPU.csdata,"",@progbits
; Kernel info:
; codeLenInByte = 1056
; TotalNumSgprs: 30
; NumVgprs: 32
; NumAgprs: 0
; TotalNumVgprs: 32
; ScratchSize: 0
; MemoryBound: 0
; FloatMode: 240
; IeeeMode: 1
; LDSByteSize: 8192 bytes/workgroup (compile time only)
; SGPRBlocks: 3
; VGPRBlocks: 3
; NumSGPRsForWavesPerEU: 30
; NumVGPRsForWavesPerEU: 32
; AccumOffset: 32
; Occupancy: 8
; WaveLimiterHint : 0
; COMPUTE_PGM_RSRC2:SCRATCH_EN: 0
; COMPUTE_PGM_RSRC2:USER_SGPR: 2
; COMPUTE_PGM_RSRC2:TRAP_HANDLER: 0
; COMPUTE_PGM_RSRC2:TGID_X_EN: 1
; COMPUTE_PGM_RSRC2:TGID_Y_EN: 0
; COMPUTE_PGM_RSRC2:TGID_Z_EN: 0
; COMPUTE_PGM_RSRC2:TIDIG_COMP_CNT: 0
; COMPUTE_PGM_RSRC3_GFX90A:ACCUM_OFFSET: 7
; COMPUTE_PGM_RSRC3_GFX90A:TG_SPLIT: 0
	.section	.text._ZN9rocsparseL22dense_transpose_kernelILj32ELj8El21rocsparse_complex_numIfES2_EEvT1_S3_T3_PKT2_lPS5_l,"axG",@progbits,_ZN9rocsparseL22dense_transpose_kernelILj32ELj8El21rocsparse_complex_numIfES2_EEvT1_S3_T3_PKT2_lPS5_l,comdat
	.globl	_ZN9rocsparseL22dense_transpose_kernelILj32ELj8El21rocsparse_complex_numIfES2_EEvT1_S3_T3_PKT2_lPS5_l ; -- Begin function _ZN9rocsparseL22dense_transpose_kernelILj32ELj8El21rocsparse_complex_numIfES2_EEvT1_S3_T3_PKT2_lPS5_l
	.p2align	8
	.type	_ZN9rocsparseL22dense_transpose_kernelILj32ELj8El21rocsparse_complex_numIfES2_EEvT1_S3_T3_PKT2_lPS5_l,@function
_ZN9rocsparseL22dense_transpose_kernelILj32ELj8El21rocsparse_complex_numIfES2_EEvT1_S3_T3_PKT2_lPS5_l: ; @_ZN9rocsparseL22dense_transpose_kernelILj32ELj8El21rocsparse_complex_numIfES2_EEvT1_S3_T3_PKT2_lPS5_l
; %bb.0:
	s_load_dwordx4 s[16:19], s[0:1], 0x0
	s_waitcnt lgkmcnt(0)
	v_cmp_lt_i64_e64 s[4:5], s[18:19], 1
	s_and_b64 vcc, exec, s[4:5]
	s_cbranch_vccnz .LBB12_20
; %bb.1:
	s_load_dwordx8 s[8:15], s[0:1], 0x18
	s_load_dwordx2 s[20:21], s[0:1], 0x10
	s_lshl_b32 s0, s2, 5
	v_lshrrev_b32_e32 v2, 5, v0
	v_or_b32_e32 v6, s0, v2
	v_mov_b32_e32 v7, 0
	v_and_b32_e32 v0, 31, v0
	v_or_b32_e32 v18, s0, v0
	v_mov_b32_e32 v19, v7
	v_or_b32_e32 v8, 8, v6
	v_mov_b32_e32 v9, v7
	;; [unrolled: 2-line block ×4, first 2 shown]
	s_waitcnt lgkmcnt(0)
	v_mov_b32_e32 v16, s8
	v_mov_b32_e32 v17, s9
	v_cmp_gt_i64_e64 s[0:1], s[16:17], v[18:19]
	v_cmp_le_i64_e64 s[2:3], s[16:17], v[6:7]
	v_cmp_le_i64_e64 s[4:5], s[16:17], v[8:9]
	v_cmp_le_i64_e64 s[6:7], s[16:17], v[10:11]
	v_cmp_le_i64_e64 s[8:9], s[16:17], v[12:13]
	v_mad_u64_u32 v[14:15], s[16:17], s14, v6, 0
	v_lshlrev_b32_e32 v5, 3, v2
	v_mov_b32_e32 v20, v15
	v_mov_b32_e32 v3, v7
	;; [unrolled: 1-line block ×3, first 2 shown]
	v_lshl_or_b32 v29, v0, 8, v5
	v_mov_b32_e32 v5, v7
	v_mad_u64_u32 v[6:7], s[16:17], s15, v6, v[20:21]
	v_mov_b32_e32 v15, v6
	v_lshl_add_u64 v[6:7], v[14:15], 3, s[12:13]
	v_mad_u64_u32 v[14:15], s[16:17], s14, v8, 0
	v_mov_b32_e32 v20, v15
	v_mad_u64_u32 v[8:9], s[16:17], s15, v8, v[20:21]
	v_mov_b32_e32 v15, v8
	v_lshl_add_u64 v[8:9], v[14:15], 3, s[12:13]
	v_mad_u64_u32 v[14:15], s[16:17], s14, v10, 0
	;; [unrolled: 5-line block ×4, first 2 shown]
	v_mov_b32_e32 v20, v15
	v_mad_u64_u32 v[20:21], s[12:13], s11, v2, v[20:21]
	v_or_b32_e32 v21, 24, v2
	v_lshl_add_u64 v[16:17], v[18:19], 3, v[16:17]
	v_mad_u64_u32 v[18:19], s[14:15], s10, v21, 0
	v_mov_b32_e32 v15, v20
	v_mov_b32_e32 v20, v19
	v_mad_u64_u32 v[20:21], s[14:15], s11, v21, v[20:21]
	v_or_b32_e32 v23, 16, v2
	v_mov_b32_e32 v19, v20
	v_mad_u64_u32 v[20:21], s[14:15], s10, v23, 0
	v_mov_b32_e32 v22, v21
	v_mad_u64_u32 v[22:23], s[14:15], s11, v23, v[22:23]
	v_or_b32_e32 v25, 8, v2
	v_mov_b32_e32 v21, v22
	v_mad_u64_u32 v[22:23], s[14:15], s10, v25, 0
	v_mov_b32_e32 v24, v23
	s_lshl_b64 s[12:13], s[10:11], 8
	v_mad_u64_u32 v[24:25], s[10:11], s11, v25, v[24:25]
	v_lshlrev_b32_e32 v4, 3, v0
	v_mov_b32_e32 v23, v24
	v_lshl_or_b32 v28, v2, 8, v4
	s_xor_b32 s22, s21, 0x80000000
	s_mov_b32 s23, s20
	v_lshlrev_b64 v[14:15], 3, v[14:15]
	v_lshlrev_b64 v[18:19], 3, v[18:19]
	;; [unrolled: 1-line block ×4, first 2 shown]
	s_mov_b64 s[10:11], 0
	s_mov_b64 s[14:15], 0x100
	v_mov_b64_e32 v[24:25], s[18:19]
	s_branch .LBB12_3
.LBB12_2:                               ;   in Loop: Header=BB12_3 Depth=1
	s_or_b64 exec, exec, s[16:17]
	s_add_u32 s10, s10, 32
	s_addc_u32 s11, s11, 0
	v_cmp_lt_i64_e32 vcc, s[10:11], v[24:25]
	v_lshl_add_u64 v[6:7], v[6:7], 0, s[14:15]
	v_lshl_add_u64 v[8:9], v[8:9], 0, s[14:15]
	;; [unrolled: 1-line block ×5, first 2 shown]
	s_cbranch_vccz .LBB12_20
.LBB12_3:                               ; =>This Inner Loop Header: Depth=1
	v_lshl_add_u64 v[26:27], v[2:3], 0, s[10:11]
	v_cmp_gt_i64_e32 vcc, s[18:19], v[26:27]
	s_and_b64 s[24:25], s[0:1], vcc
	s_barrier
	s_and_saveexec_b64 s[16:17], s[24:25]
	s_cbranch_execz .LBB12_5
; %bb.4:                                ;   in Loop: Header=BB12_3 Depth=1
	v_lshl_add_u64 v[30:31], v[16:17], 0, v[14:15]
	global_load_dwordx2 v[30:31], v[30:31], off
	s_waitcnt vmcnt(0)
	ds_write_b64 v28, v[30:31]
.LBB12_5:                               ;   in Loop: Header=BB12_3 Depth=1
	s_or_b64 exec, exec, s[16:17]
	s_and_saveexec_b64 s[16:17], s[0:1]
	s_cbranch_execz .LBB12_12
; %bb.6:                                ;   in Loop: Header=BB12_3 Depth=1
	v_lshl_add_u64 v[30:31], v[26:27], 0, 8
	v_cmp_gt_i64_e32 vcc, s[18:19], v[30:31]
	s_and_saveexec_b64 s[24:25], vcc
	s_cbranch_execz .LBB12_8
; %bb.7:                                ;   in Loop: Header=BB12_3 Depth=1
	v_lshl_add_u64 v[30:31], v[16:17], 0, v[22:23]
	global_load_dwordx2 v[30:31], v[30:31], off
	s_waitcnt vmcnt(0)
	ds_write_b64 v28, v[30:31] offset:2048
.LBB12_8:                               ;   in Loop: Header=BB12_3 Depth=1
	s_or_b64 exec, exec, s[24:25]
	v_lshl_add_u64 v[30:31], v[26:27], 0, 16
	v_cmp_gt_i64_e32 vcc, s[18:19], v[30:31]
	s_and_saveexec_b64 s[24:25], vcc
	s_cbranch_execz .LBB12_10
; %bb.9:                                ;   in Loop: Header=BB12_3 Depth=1
	v_lshl_add_u64 v[30:31], v[16:17], 0, v[20:21]
	global_load_dwordx2 v[30:31], v[30:31], off
	s_waitcnt vmcnt(0)
	ds_write_b64 v28, v[30:31] offset:4096
.LBB12_10:                              ;   in Loop: Header=BB12_3 Depth=1
	s_or_b64 exec, exec, s[24:25]
	v_lshl_add_u64 v[26:27], v[26:27], 0, 24
	v_cmp_gt_i64_e32 vcc, s[18:19], v[26:27]
	s_and_b64 exec, exec, vcc
	s_cbranch_execz .LBB12_12
; %bb.11:                               ;   in Loop: Header=BB12_3 Depth=1
	v_lshl_add_u64 v[26:27], v[16:17], 0, v[18:19]
	global_load_dwordx2 v[26:27], v[26:27], off
	s_waitcnt vmcnt(0)
	ds_write_b64 v28, v[26:27] offset:6144
.LBB12_12:                              ;   in Loop: Header=BB12_3 Depth=1
	s_or_b64 exec, exec, s[16:17]
	v_lshl_add_u64 v[26:27], v[0:1], 0, s[10:11]
	v_cmp_le_i64_e32 vcc, s[18:19], v[26:27]
	s_nor_b64 s[24:25], vcc, s[2:3]
	s_waitcnt lgkmcnt(0)
	s_barrier
	s_and_saveexec_b64 s[16:17], s[24:25]
	s_cbranch_execnz .LBB12_16
; %bb.13:                               ;   in Loop: Header=BB12_3 Depth=1
	s_or_b64 exec, exec, s[16:17]
	s_nor_b64 s[24:25], vcc, s[4:5]
	s_and_saveexec_b64 s[16:17], s[24:25]
	s_cbranch_execnz .LBB12_17
.LBB12_14:                              ;   in Loop: Header=BB12_3 Depth=1
	s_or_b64 exec, exec, s[16:17]
	s_nor_b64 s[24:25], vcc, s[6:7]
	s_and_saveexec_b64 s[16:17], s[24:25]
	s_cbranch_execnz .LBB12_18
.LBB12_15:                              ;   in Loop: Header=BB12_3 Depth=1
	s_or_b64 exec, exec, s[16:17]
	s_nor_b64 s[24:25], vcc, s[8:9]
	s_and_saveexec_b64 s[16:17], s[24:25]
	s_cbranch_execz .LBB12_2
	s_branch .LBB12_19
.LBB12_16:                              ;   in Loop: Header=BB12_3 Depth=1
	ds_read_b64 v[26:27], v29
	v_lshl_add_u64 v[30:31], v[6:7], 0, v[4:5]
	s_waitcnt lgkmcnt(0)
	v_pk_mul_f32 v[32:33], v[26:27], s[22:23] op_sel:[1,0]
	s_nop 0
	v_pk_fma_f32 v[26:27], s[20:21], v[26:27], v[32:33] op_sel_hi:[1,0,1]
	global_store_dwordx2 v[30:31], v[26:27], off
	s_or_b64 exec, exec, s[16:17]
	s_nor_b64 s[24:25], vcc, s[4:5]
	s_and_saveexec_b64 s[16:17], s[24:25]
	s_cbranch_execz .LBB12_14
.LBB12_17:                              ;   in Loop: Header=BB12_3 Depth=1
	ds_read_b64 v[26:27], v29 offset:64
	v_lshl_add_u64 v[30:31], v[8:9], 0, v[4:5]
	s_waitcnt lgkmcnt(0)
	v_pk_mul_f32 v[32:33], v[26:27], s[22:23] op_sel:[1,0]
	s_nop 0
	v_pk_fma_f32 v[26:27], s[20:21], v[26:27], v[32:33] op_sel_hi:[1,0,1]
	global_store_dwordx2 v[30:31], v[26:27], off
	s_or_b64 exec, exec, s[16:17]
	s_nor_b64 s[24:25], vcc, s[6:7]
	s_and_saveexec_b64 s[16:17], s[24:25]
	s_cbranch_execz .LBB12_15
.LBB12_18:                              ;   in Loop: Header=BB12_3 Depth=1
	ds_read_b64 v[26:27], v29 offset:128
	v_lshl_add_u64 v[30:31], v[10:11], 0, v[4:5]
	s_waitcnt lgkmcnt(0)
	v_pk_mul_f32 v[32:33], v[26:27], s[22:23] op_sel:[1,0]
	s_nop 0
	v_pk_fma_f32 v[26:27], s[20:21], v[26:27], v[32:33] op_sel_hi:[1,0,1]
	global_store_dwordx2 v[30:31], v[26:27], off
	s_or_b64 exec, exec, s[16:17]
	s_nor_b64 s[24:25], vcc, s[8:9]
	s_and_saveexec_b64 s[16:17], s[24:25]
	s_cbranch_execz .LBB12_2
.LBB12_19:                              ;   in Loop: Header=BB12_3 Depth=1
	ds_read_b64 v[26:27], v29 offset:192
	v_lshl_add_u64 v[30:31], v[12:13], 0, v[4:5]
	s_waitcnt lgkmcnt(0)
	v_pk_mul_f32 v[32:33], v[26:27], s[22:23] op_sel:[1,0]
	s_nop 0
	v_pk_fma_f32 v[26:27], s[20:21], v[26:27], v[32:33] op_sel_hi:[1,0,1]
	global_store_dwordx2 v[30:31], v[26:27], off
	s_branch .LBB12_2
.LBB12_20:
	s_endpgm
	.section	.rodata,"a",@progbits
	.p2align	6, 0x0
	.amdhsa_kernel _ZN9rocsparseL22dense_transpose_kernelILj32ELj8El21rocsparse_complex_numIfES2_EEvT1_S3_T3_PKT2_lPS5_l
		.amdhsa_group_segment_fixed_size 8192
		.amdhsa_private_segment_fixed_size 0
		.amdhsa_kernarg_size 56
		.amdhsa_user_sgpr_count 2
		.amdhsa_user_sgpr_dispatch_ptr 0
		.amdhsa_user_sgpr_queue_ptr 0
		.amdhsa_user_sgpr_kernarg_segment_ptr 1
		.amdhsa_user_sgpr_dispatch_id 0
		.amdhsa_user_sgpr_kernarg_preload_length 0
		.amdhsa_user_sgpr_kernarg_preload_offset 0
		.amdhsa_user_sgpr_private_segment_size 0
		.amdhsa_uses_dynamic_stack 0
		.amdhsa_enable_private_segment 0
		.amdhsa_system_sgpr_workgroup_id_x 1
		.amdhsa_system_sgpr_workgroup_id_y 0
		.amdhsa_system_sgpr_workgroup_id_z 0
		.amdhsa_system_sgpr_workgroup_info 0
		.amdhsa_system_vgpr_workitem_id 0
		.amdhsa_next_free_vgpr 34
		.amdhsa_next_free_sgpr 26
		.amdhsa_accum_offset 36
		.amdhsa_reserve_vcc 1
		.amdhsa_float_round_mode_32 0
		.amdhsa_float_round_mode_16_64 0
		.amdhsa_float_denorm_mode_32 3
		.amdhsa_float_denorm_mode_16_64 3
		.amdhsa_dx10_clamp 1
		.amdhsa_ieee_mode 1
		.amdhsa_fp16_overflow 0
		.amdhsa_tg_split 0
		.amdhsa_exception_fp_ieee_invalid_op 0
		.amdhsa_exception_fp_denorm_src 0
		.amdhsa_exception_fp_ieee_div_zero 0
		.amdhsa_exception_fp_ieee_overflow 0
		.amdhsa_exception_fp_ieee_underflow 0
		.amdhsa_exception_fp_ieee_inexact 0
		.amdhsa_exception_int_div_zero 0
	.end_amdhsa_kernel
	.section	.text._ZN9rocsparseL22dense_transpose_kernelILj32ELj8El21rocsparse_complex_numIfES2_EEvT1_S3_T3_PKT2_lPS5_l,"axG",@progbits,_ZN9rocsparseL22dense_transpose_kernelILj32ELj8El21rocsparse_complex_numIfES2_EEvT1_S3_T3_PKT2_lPS5_l,comdat
.Lfunc_end12:
	.size	_ZN9rocsparseL22dense_transpose_kernelILj32ELj8El21rocsparse_complex_numIfES2_EEvT1_S3_T3_PKT2_lPS5_l, .Lfunc_end12-_ZN9rocsparseL22dense_transpose_kernelILj32ELj8El21rocsparse_complex_numIfES2_EEvT1_S3_T3_PKT2_lPS5_l
                                        ; -- End function
	.set _ZN9rocsparseL22dense_transpose_kernelILj32ELj8El21rocsparse_complex_numIfES2_EEvT1_S3_T3_PKT2_lPS5_l.num_vgpr, 34
	.set _ZN9rocsparseL22dense_transpose_kernelILj32ELj8El21rocsparse_complex_numIfES2_EEvT1_S3_T3_PKT2_lPS5_l.num_agpr, 0
	.set _ZN9rocsparseL22dense_transpose_kernelILj32ELj8El21rocsparse_complex_numIfES2_EEvT1_S3_T3_PKT2_lPS5_l.numbered_sgpr, 26
	.set _ZN9rocsparseL22dense_transpose_kernelILj32ELj8El21rocsparse_complex_numIfES2_EEvT1_S3_T3_PKT2_lPS5_l.num_named_barrier, 0
	.set _ZN9rocsparseL22dense_transpose_kernelILj32ELj8El21rocsparse_complex_numIfES2_EEvT1_S3_T3_PKT2_lPS5_l.private_seg_size, 0
	.set _ZN9rocsparseL22dense_transpose_kernelILj32ELj8El21rocsparse_complex_numIfES2_EEvT1_S3_T3_PKT2_lPS5_l.uses_vcc, 1
	.set _ZN9rocsparseL22dense_transpose_kernelILj32ELj8El21rocsparse_complex_numIfES2_EEvT1_S3_T3_PKT2_lPS5_l.uses_flat_scratch, 0
	.set _ZN9rocsparseL22dense_transpose_kernelILj32ELj8El21rocsparse_complex_numIfES2_EEvT1_S3_T3_PKT2_lPS5_l.has_dyn_sized_stack, 0
	.set _ZN9rocsparseL22dense_transpose_kernelILj32ELj8El21rocsparse_complex_numIfES2_EEvT1_S3_T3_PKT2_lPS5_l.has_recursion, 0
	.set _ZN9rocsparseL22dense_transpose_kernelILj32ELj8El21rocsparse_complex_numIfES2_EEvT1_S3_T3_PKT2_lPS5_l.has_indirect_call, 0
	.section	.AMDGPU.csdata,"",@progbits
; Kernel info:
; codeLenInByte = 1112
; TotalNumSgprs: 32
; NumVgprs: 34
; NumAgprs: 0
; TotalNumVgprs: 34
; ScratchSize: 0
; MemoryBound: 0
; FloatMode: 240
; IeeeMode: 1
; LDSByteSize: 8192 bytes/workgroup (compile time only)
; SGPRBlocks: 3
; VGPRBlocks: 4
; NumSGPRsForWavesPerEU: 32
; NumVGPRsForWavesPerEU: 34
; AccumOffset: 36
; Occupancy: 8
; WaveLimiterHint : 0
; COMPUTE_PGM_RSRC2:SCRATCH_EN: 0
; COMPUTE_PGM_RSRC2:USER_SGPR: 2
; COMPUTE_PGM_RSRC2:TRAP_HANDLER: 0
; COMPUTE_PGM_RSRC2:TGID_X_EN: 1
; COMPUTE_PGM_RSRC2:TGID_Y_EN: 0
; COMPUTE_PGM_RSRC2:TGID_Z_EN: 0
; COMPUTE_PGM_RSRC2:TIDIG_COMP_CNT: 0
; COMPUTE_PGM_RSRC3_GFX90A:ACCUM_OFFSET: 8
; COMPUTE_PGM_RSRC3_GFX90A:TG_SPLIT: 0
	.section	.text._ZN9rocsparseL22dense_transpose_kernelILj32ELj8El21rocsparse_complex_numIfEPKS2_EEvT1_S5_T3_PKT2_lPS7_l,"axG",@progbits,_ZN9rocsparseL22dense_transpose_kernelILj32ELj8El21rocsparse_complex_numIfEPKS2_EEvT1_S5_T3_PKT2_lPS7_l,comdat
	.globl	_ZN9rocsparseL22dense_transpose_kernelILj32ELj8El21rocsparse_complex_numIfEPKS2_EEvT1_S5_T3_PKT2_lPS7_l ; -- Begin function _ZN9rocsparseL22dense_transpose_kernelILj32ELj8El21rocsparse_complex_numIfEPKS2_EEvT1_S5_T3_PKT2_lPS7_l
	.p2align	8
	.type	_ZN9rocsparseL22dense_transpose_kernelILj32ELj8El21rocsparse_complex_numIfEPKS2_EEvT1_S5_T3_PKT2_lPS7_l,@function
_ZN9rocsparseL22dense_transpose_kernelILj32ELj8El21rocsparse_complex_numIfEPKS2_EEvT1_S5_T3_PKT2_lPS7_l: ; @_ZN9rocsparseL22dense_transpose_kernelILj32ELj8El21rocsparse_complex_numIfEPKS2_EEvT1_S5_T3_PKT2_lPS7_l
; %bb.0:
	s_load_dwordx8 s[8:15], s[0:1], 0x0
	s_waitcnt lgkmcnt(0)
	v_cmp_lt_i64_e64 s[4:5], s[10:11], 1
	s_and_b64 vcc, exec, s[4:5]
	s_cbranch_vccnz .LBB13_20
; %bb.1:
	s_load_dwordx8 s[16:23], s[0:1], 0x20
	s_lshl_b32 s0, s2, 5
	v_lshrrev_b32_e32 v2, 5, v0
	v_or_b32_e32 v6, s0, v2
	v_mov_b32_e32 v7, 0
	s_waitcnt lgkmcnt(0)
	v_mad_u64_u32 v[14:15], s[22:23], s20, v6, 0
	v_and_b32_e32 v0, 31, v0
	v_lshlrev_b32_e32 v5, 3, v2
	v_mov_b32_e32 v20, v15
	v_mov_b32_e32 v19, v7
	;; [unrolled: 1-line block ×4, first 2 shown]
	v_lshl_or_b32 v29, v0, 8, v5
	v_cmp_le_i64_e64 s[2:3], s[8:9], v[6:7]
	v_or_b32_e32 v8, 8, v6
	v_mov_b32_e32 v9, v7
	v_or_b32_e32 v10, 16, v6
	v_mov_b32_e32 v11, v7
	;; [unrolled: 2-line block ×3, first 2 shown]
	v_mov_b32_e32 v5, v7
	v_mad_u64_u32 v[6:7], s[22:23], s21, v6, v[20:21]
	v_mov_b32_e32 v15, v6
	v_lshl_add_u64 v[6:7], v[14:15], 3, s[18:19]
	v_mad_u64_u32 v[14:15], s[22:23], s20, v8, 0
	v_mov_b32_e32 v20, v15
	v_cmp_le_i64_e64 s[4:5], s[8:9], v[8:9]
	v_mad_u64_u32 v[8:9], s[22:23], s21, v8, v[20:21]
	v_mov_b32_e32 v15, v8
	v_lshl_add_u64 v[8:9], v[14:15], 3, s[18:19]
	v_mad_u64_u32 v[14:15], s[22:23], s20, v10, 0
	v_mov_b32_e32 v20, v15
	v_cmp_le_i64_e64 s[6:7], s[8:9], v[10:11]
	v_mad_u64_u32 v[10:11], s[22:23], s21, v10, v[20:21]
	v_mov_b32_e32 v15, v10
	v_lshl_add_u64 v[10:11], v[14:15], 3, s[18:19]
	v_mad_u64_u32 v[14:15], s[22:23], s20, v12, 0
	v_or_b32_e32 v18, s0, v0
	v_mov_b32_e32 v20, v15
	v_cmp_gt_i64_e64 s[0:1], s[8:9], v[18:19]
	v_cmp_le_i64_e64 s[8:9], s[8:9], v[12:13]
	v_mad_u64_u32 v[12:13], s[20:21], s21, v12, v[20:21]
	v_mov_b32_e32 v15, v12
	v_lshl_add_u64 v[12:13], v[14:15], 3, s[18:19]
	v_mad_u64_u32 v[14:15], s[18:19], s16, v2, 0
	v_mov_b32_e32 v20, v15
	v_mad_u64_u32 v[20:21], s[18:19], s17, v2, v[20:21]
	v_mov_b32_e32 v16, s14
	v_mov_b32_e32 v17, s15
	v_or_b32_e32 v21, 24, v2
	v_lshl_add_u64 v[16:17], v[18:19], 3, v[16:17]
	v_mad_u64_u32 v[18:19], s[20:21], s16, v21, 0
	v_mov_b32_e32 v15, v20
	v_mov_b32_e32 v20, v19
	v_mad_u64_u32 v[20:21], s[20:21], s17, v21, v[20:21]
	v_or_b32_e32 v23, 16, v2
	v_mov_b32_e32 v19, v20
	v_mad_u64_u32 v[20:21], s[20:21], s16, v23, 0
	v_mov_b32_e32 v22, v21
	s_load_dwordx2 s[14:15], s[12:13], 0x0
	v_mad_u64_u32 v[22:23], s[20:21], s17, v23, v[22:23]
	v_or_b32_e32 v25, 8, v2
	v_mov_b32_e32 v21, v22
	v_mad_u64_u32 v[22:23], s[20:21], s16, v25, 0
	v_mov_b32_e32 v24, v23
	s_lshl_b64 s[18:19], s[16:17], 8
	v_mad_u64_u32 v[24:25], s[16:17], s17, v25, v[24:25]
	v_lshlrev_b32_e32 v4, 3, v0
	v_mov_b32_e32 v23, v24
	v_lshl_or_b32 v28, v2, 8, v4
	s_waitcnt lgkmcnt(0)
	s_xor_b32 s12, s15, 0x80000000
	s_mov_b32 s13, s14
	v_lshlrev_b64 v[14:15], 3, v[14:15]
	v_lshlrev_b64 v[18:19], 3, v[18:19]
	v_lshlrev_b64 v[20:21], 3, v[20:21]
	v_lshlrev_b64 v[22:23], 3, v[22:23]
	s_mov_b64 s[16:17], 0
	s_mov_b64 s[20:21], 0x100
	v_mov_b64_e32 v[24:25], s[10:11]
	s_branch .LBB13_3
.LBB13_2:                               ;   in Loop: Header=BB13_3 Depth=1
	s_or_b64 exec, exec, s[22:23]
	s_add_u32 s16, s16, 32
	s_addc_u32 s17, s17, 0
	v_cmp_lt_i64_e32 vcc, s[16:17], v[24:25]
	v_lshl_add_u64 v[6:7], v[6:7], 0, s[20:21]
	v_lshl_add_u64 v[8:9], v[8:9], 0, s[20:21]
	;; [unrolled: 1-line block ×5, first 2 shown]
	s_cbranch_vccz .LBB13_20
.LBB13_3:                               ; =>This Inner Loop Header: Depth=1
	v_lshl_add_u64 v[26:27], v[2:3], 0, s[16:17]
	v_cmp_gt_i64_e32 vcc, s[10:11], v[26:27]
	s_and_b64 s[24:25], s[0:1], vcc
	s_barrier
	s_and_saveexec_b64 s[22:23], s[24:25]
	s_cbranch_execz .LBB13_5
; %bb.4:                                ;   in Loop: Header=BB13_3 Depth=1
	v_lshl_add_u64 v[30:31], v[16:17], 0, v[14:15]
	global_load_dwordx2 v[30:31], v[30:31], off
	s_waitcnt vmcnt(0)
	ds_write_b64 v28, v[30:31]
.LBB13_5:                               ;   in Loop: Header=BB13_3 Depth=1
	s_or_b64 exec, exec, s[22:23]
	s_and_saveexec_b64 s[22:23], s[0:1]
	s_cbranch_execz .LBB13_12
; %bb.6:                                ;   in Loop: Header=BB13_3 Depth=1
	v_lshl_add_u64 v[30:31], v[26:27], 0, 8
	v_cmp_gt_i64_e32 vcc, s[10:11], v[30:31]
	s_and_saveexec_b64 s[24:25], vcc
	s_cbranch_execz .LBB13_8
; %bb.7:                                ;   in Loop: Header=BB13_3 Depth=1
	v_lshl_add_u64 v[30:31], v[16:17], 0, v[22:23]
	global_load_dwordx2 v[30:31], v[30:31], off
	s_waitcnt vmcnt(0)
	ds_write_b64 v28, v[30:31] offset:2048
.LBB13_8:                               ;   in Loop: Header=BB13_3 Depth=1
	s_or_b64 exec, exec, s[24:25]
	v_lshl_add_u64 v[30:31], v[26:27], 0, 16
	v_cmp_gt_i64_e32 vcc, s[10:11], v[30:31]
	s_and_saveexec_b64 s[24:25], vcc
	s_cbranch_execz .LBB13_10
; %bb.9:                                ;   in Loop: Header=BB13_3 Depth=1
	v_lshl_add_u64 v[30:31], v[16:17], 0, v[20:21]
	global_load_dwordx2 v[30:31], v[30:31], off
	s_waitcnt vmcnt(0)
	ds_write_b64 v28, v[30:31] offset:4096
.LBB13_10:                              ;   in Loop: Header=BB13_3 Depth=1
	s_or_b64 exec, exec, s[24:25]
	v_lshl_add_u64 v[26:27], v[26:27], 0, 24
	v_cmp_gt_i64_e32 vcc, s[10:11], v[26:27]
	s_and_b64 exec, exec, vcc
	s_cbranch_execz .LBB13_12
; %bb.11:                               ;   in Loop: Header=BB13_3 Depth=1
	v_lshl_add_u64 v[26:27], v[16:17], 0, v[18:19]
	global_load_dwordx2 v[26:27], v[26:27], off
	s_waitcnt vmcnt(0)
	ds_write_b64 v28, v[26:27] offset:6144
.LBB13_12:                              ;   in Loop: Header=BB13_3 Depth=1
	s_or_b64 exec, exec, s[22:23]
	v_lshl_add_u64 v[26:27], v[0:1], 0, s[16:17]
	v_cmp_le_i64_e32 vcc, s[10:11], v[26:27]
	s_nor_b64 s[24:25], vcc, s[2:3]
	s_waitcnt lgkmcnt(0)
	s_barrier
	s_and_saveexec_b64 s[22:23], s[24:25]
	s_cbranch_execnz .LBB13_16
; %bb.13:                               ;   in Loop: Header=BB13_3 Depth=1
	s_or_b64 exec, exec, s[22:23]
	s_nor_b64 s[24:25], vcc, s[4:5]
	s_and_saveexec_b64 s[22:23], s[24:25]
	s_cbranch_execnz .LBB13_17
.LBB13_14:                              ;   in Loop: Header=BB13_3 Depth=1
	s_or_b64 exec, exec, s[22:23]
	s_nor_b64 s[24:25], vcc, s[6:7]
	s_and_saveexec_b64 s[22:23], s[24:25]
	s_cbranch_execnz .LBB13_18
.LBB13_15:                              ;   in Loop: Header=BB13_3 Depth=1
	s_or_b64 exec, exec, s[22:23]
	s_nor_b64 s[24:25], vcc, s[8:9]
	s_and_saveexec_b64 s[22:23], s[24:25]
	s_cbranch_execz .LBB13_2
	s_branch .LBB13_19
.LBB13_16:                              ;   in Loop: Header=BB13_3 Depth=1
	ds_read_b64 v[26:27], v29
	v_lshl_add_u64 v[30:31], v[6:7], 0, v[4:5]
	s_waitcnt lgkmcnt(0)
	v_pk_mul_f32 v[32:33], v[26:27], s[12:13] op_sel:[1,0]
	s_nop 0
	v_pk_fma_f32 v[26:27], s[14:15], v[26:27], v[32:33] op_sel_hi:[1,0,1]
	global_store_dwordx2 v[30:31], v[26:27], off
	s_or_b64 exec, exec, s[22:23]
	s_nor_b64 s[24:25], vcc, s[4:5]
	s_and_saveexec_b64 s[22:23], s[24:25]
	s_cbranch_execz .LBB13_14
.LBB13_17:                              ;   in Loop: Header=BB13_3 Depth=1
	ds_read_b64 v[26:27], v29 offset:64
	v_lshl_add_u64 v[30:31], v[8:9], 0, v[4:5]
	s_waitcnt lgkmcnt(0)
	v_pk_mul_f32 v[32:33], v[26:27], s[12:13] op_sel:[1,0]
	s_nop 0
	v_pk_fma_f32 v[26:27], s[14:15], v[26:27], v[32:33] op_sel_hi:[1,0,1]
	global_store_dwordx2 v[30:31], v[26:27], off
	s_or_b64 exec, exec, s[22:23]
	s_nor_b64 s[24:25], vcc, s[6:7]
	s_and_saveexec_b64 s[22:23], s[24:25]
	s_cbranch_execz .LBB13_15
.LBB13_18:                              ;   in Loop: Header=BB13_3 Depth=1
	ds_read_b64 v[26:27], v29 offset:128
	v_lshl_add_u64 v[30:31], v[10:11], 0, v[4:5]
	s_waitcnt lgkmcnt(0)
	v_pk_mul_f32 v[32:33], v[26:27], s[12:13] op_sel:[1,0]
	s_nop 0
	v_pk_fma_f32 v[26:27], s[14:15], v[26:27], v[32:33] op_sel_hi:[1,0,1]
	global_store_dwordx2 v[30:31], v[26:27], off
	s_or_b64 exec, exec, s[22:23]
	s_nor_b64 s[24:25], vcc, s[8:9]
	s_and_saveexec_b64 s[22:23], s[24:25]
	s_cbranch_execz .LBB13_2
.LBB13_19:                              ;   in Loop: Header=BB13_3 Depth=1
	ds_read_b64 v[26:27], v29 offset:192
	v_lshl_add_u64 v[30:31], v[12:13], 0, v[4:5]
	s_waitcnt lgkmcnt(0)
	v_pk_mul_f32 v[32:33], v[26:27], s[12:13] op_sel:[1,0]
	s_nop 0
	v_pk_fma_f32 v[26:27], s[14:15], v[26:27], v[32:33] op_sel_hi:[1,0,1]
	global_store_dwordx2 v[30:31], v[26:27], off
	s_branch .LBB13_2
.LBB13_20:
	s_endpgm
	.section	.rodata,"a",@progbits
	.p2align	6, 0x0
	.amdhsa_kernel _ZN9rocsparseL22dense_transpose_kernelILj32ELj8El21rocsparse_complex_numIfEPKS2_EEvT1_S5_T3_PKT2_lPS7_l
		.amdhsa_group_segment_fixed_size 8192
		.amdhsa_private_segment_fixed_size 0
		.amdhsa_kernarg_size 56
		.amdhsa_user_sgpr_count 2
		.amdhsa_user_sgpr_dispatch_ptr 0
		.amdhsa_user_sgpr_queue_ptr 0
		.amdhsa_user_sgpr_kernarg_segment_ptr 1
		.amdhsa_user_sgpr_dispatch_id 0
		.amdhsa_user_sgpr_kernarg_preload_length 0
		.amdhsa_user_sgpr_kernarg_preload_offset 0
		.amdhsa_user_sgpr_private_segment_size 0
		.amdhsa_uses_dynamic_stack 0
		.amdhsa_enable_private_segment 0
		.amdhsa_system_sgpr_workgroup_id_x 1
		.amdhsa_system_sgpr_workgroup_id_y 0
		.amdhsa_system_sgpr_workgroup_id_z 0
		.amdhsa_system_sgpr_workgroup_info 0
		.amdhsa_system_vgpr_workitem_id 0
		.amdhsa_next_free_vgpr 34
		.amdhsa_next_free_sgpr 26
		.amdhsa_accum_offset 36
		.amdhsa_reserve_vcc 1
		.amdhsa_float_round_mode_32 0
		.amdhsa_float_round_mode_16_64 0
		.amdhsa_float_denorm_mode_32 3
		.amdhsa_float_denorm_mode_16_64 3
		.amdhsa_dx10_clamp 1
		.amdhsa_ieee_mode 1
		.amdhsa_fp16_overflow 0
		.amdhsa_tg_split 0
		.amdhsa_exception_fp_ieee_invalid_op 0
		.amdhsa_exception_fp_denorm_src 0
		.amdhsa_exception_fp_ieee_div_zero 0
		.amdhsa_exception_fp_ieee_overflow 0
		.amdhsa_exception_fp_ieee_underflow 0
		.amdhsa_exception_fp_ieee_inexact 0
		.amdhsa_exception_int_div_zero 0
	.end_amdhsa_kernel
	.section	.text._ZN9rocsparseL22dense_transpose_kernelILj32ELj8El21rocsparse_complex_numIfEPKS2_EEvT1_S5_T3_PKT2_lPS7_l,"axG",@progbits,_ZN9rocsparseL22dense_transpose_kernelILj32ELj8El21rocsparse_complex_numIfEPKS2_EEvT1_S5_T3_PKT2_lPS7_l,comdat
.Lfunc_end13:
	.size	_ZN9rocsparseL22dense_transpose_kernelILj32ELj8El21rocsparse_complex_numIfEPKS2_EEvT1_S5_T3_PKT2_lPS7_l, .Lfunc_end13-_ZN9rocsparseL22dense_transpose_kernelILj32ELj8El21rocsparse_complex_numIfEPKS2_EEvT1_S5_T3_PKT2_lPS7_l
                                        ; -- End function
	.set _ZN9rocsparseL22dense_transpose_kernelILj32ELj8El21rocsparse_complex_numIfEPKS2_EEvT1_S5_T3_PKT2_lPS7_l.num_vgpr, 34
	.set _ZN9rocsparseL22dense_transpose_kernelILj32ELj8El21rocsparse_complex_numIfEPKS2_EEvT1_S5_T3_PKT2_lPS7_l.num_agpr, 0
	.set _ZN9rocsparseL22dense_transpose_kernelILj32ELj8El21rocsparse_complex_numIfEPKS2_EEvT1_S5_T3_PKT2_lPS7_l.numbered_sgpr, 26
	.set _ZN9rocsparseL22dense_transpose_kernelILj32ELj8El21rocsparse_complex_numIfEPKS2_EEvT1_S5_T3_PKT2_lPS7_l.num_named_barrier, 0
	.set _ZN9rocsparseL22dense_transpose_kernelILj32ELj8El21rocsparse_complex_numIfEPKS2_EEvT1_S5_T3_PKT2_lPS7_l.private_seg_size, 0
	.set _ZN9rocsparseL22dense_transpose_kernelILj32ELj8El21rocsparse_complex_numIfEPKS2_EEvT1_S5_T3_PKT2_lPS7_l.uses_vcc, 1
	.set _ZN9rocsparseL22dense_transpose_kernelILj32ELj8El21rocsparse_complex_numIfEPKS2_EEvT1_S5_T3_PKT2_lPS7_l.uses_flat_scratch, 0
	.set _ZN9rocsparseL22dense_transpose_kernelILj32ELj8El21rocsparse_complex_numIfEPKS2_EEvT1_S5_T3_PKT2_lPS7_l.has_dyn_sized_stack, 0
	.set _ZN9rocsparseL22dense_transpose_kernelILj32ELj8El21rocsparse_complex_numIfEPKS2_EEvT1_S5_T3_PKT2_lPS7_l.has_recursion, 0
	.set _ZN9rocsparseL22dense_transpose_kernelILj32ELj8El21rocsparse_complex_numIfEPKS2_EEvT1_S5_T3_PKT2_lPS7_l.has_indirect_call, 0
	.section	.AMDGPU.csdata,"",@progbits
; Kernel info:
; codeLenInByte = 1116
; TotalNumSgprs: 32
; NumVgprs: 34
; NumAgprs: 0
; TotalNumVgprs: 34
; ScratchSize: 0
; MemoryBound: 0
; FloatMode: 240
; IeeeMode: 1
; LDSByteSize: 8192 bytes/workgroup (compile time only)
; SGPRBlocks: 3
; VGPRBlocks: 4
; NumSGPRsForWavesPerEU: 32
; NumVGPRsForWavesPerEU: 34
; AccumOffset: 36
; Occupancy: 8
; WaveLimiterHint : 0
; COMPUTE_PGM_RSRC2:SCRATCH_EN: 0
; COMPUTE_PGM_RSRC2:USER_SGPR: 2
; COMPUTE_PGM_RSRC2:TRAP_HANDLER: 0
; COMPUTE_PGM_RSRC2:TGID_X_EN: 1
; COMPUTE_PGM_RSRC2:TGID_Y_EN: 0
; COMPUTE_PGM_RSRC2:TGID_Z_EN: 0
; COMPUTE_PGM_RSRC2:TIDIG_COMP_CNT: 0
; COMPUTE_PGM_RSRC3_GFX90A:ACCUM_OFFSET: 8
; COMPUTE_PGM_RSRC3_GFX90A:TG_SPLIT: 0
	.section	.text._ZN9rocsparseL22dense_transpose_kernelILj32ELj8El21rocsparse_complex_numIdES2_EEvT1_S3_T3_PKT2_lPS5_l,"axG",@progbits,_ZN9rocsparseL22dense_transpose_kernelILj32ELj8El21rocsparse_complex_numIdES2_EEvT1_S3_T3_PKT2_lPS5_l,comdat
	.globl	_ZN9rocsparseL22dense_transpose_kernelILj32ELj8El21rocsparse_complex_numIdES2_EEvT1_S3_T3_PKT2_lPS5_l ; -- Begin function _ZN9rocsparseL22dense_transpose_kernelILj32ELj8El21rocsparse_complex_numIdES2_EEvT1_S3_T3_PKT2_lPS5_l
	.p2align	8
	.type	_ZN9rocsparseL22dense_transpose_kernelILj32ELj8El21rocsparse_complex_numIdES2_EEvT1_S3_T3_PKT2_lPS5_l,@function
_ZN9rocsparseL22dense_transpose_kernelILj32ELj8El21rocsparse_complex_numIdES2_EEvT1_S3_T3_PKT2_lPS5_l: ; @_ZN9rocsparseL22dense_transpose_kernelILj32ELj8El21rocsparse_complex_numIdES2_EEvT1_S3_T3_PKT2_lPS5_l
; %bb.0:
	s_load_dwordx16 s[8:23], s[0:1], 0x0
	s_waitcnt lgkmcnt(0)
	v_cmp_lt_i64_e64 s[0:1], s[10:11], 1
	s_and_b64 vcc, exec, s[0:1]
	s_cbranch_vccnz .LBB14_20
; %bb.1:
	s_lshl_b32 s0, s2, 5
	v_lshrrev_b32_e32 v2, 5, v0
	v_or_b32_e32 v6, s0, v2
	v_mov_b32_e32 v12, s16
	v_mov_b32_e32 v13, s17
	v_mad_u64_u32 v[10:11], s[16:17], s22, v6, 0
	v_mov_b32_e32 v7, 0
	v_and_b32_e32 v0, 31, v0
	v_lshlrev_b32_e32 v5, 4, v2
	v_mov_b32_e32 v20, v11
	v_mov_b32_e32 v15, v7
	v_mov_b32_e32 v3, v7
	v_mov_b32_e32 v1, v7
	v_lshl_or_b32 v29, v0, 9, v5
	v_cmp_le_i64_e64 s[2:3], s[8:9], v[6:7]
	v_or_b32_e32 v8, 8, v6
	v_mov_b32_e32 v9, v7
	v_or_b32_e32 v16, 16, v6
	v_mov_b32_e32 v17, v7
	;; [unrolled: 2-line block ×3, first 2 shown]
	v_mov_b32_e32 v5, v7
	v_mad_u64_u32 v[6:7], s[16:17], s23, v6, v[20:21]
	v_mov_b32_e32 v11, v6
	v_lshl_add_u64 v[6:7], v[10:11], 4, s[20:21]
	v_mad_u64_u32 v[10:11], s[16:17], s22, v8, 0
	v_mov_b32_e32 v20, v11
	v_cmp_le_i64_e64 s[4:5], s[8:9], v[8:9]
	v_mad_u64_u32 v[8:9], s[16:17], s23, v8, v[20:21]
	v_cmp_le_i64_e64 s[6:7], s[8:9], v[16:17]
	v_mov_b32_e32 v11, v8
	v_or_b32_e32 v17, 8, v2
	v_lshl_add_u64 v[8:9], v[10:11], 4, s[20:21]
	v_mad_u64_u32 v[10:11], s[16:17], s18, v17, 0
	v_or_b32_e32 v14, s0, v0
	v_mov_b32_e32 v20, v11
	v_cmp_gt_i64_e64 s[0:1], s[8:9], v[14:15]
	v_mad_u64_u32 v[20:21], s[16:17], s19, v17, v[20:21]
	v_lshl_add_u64 v[12:13], v[14:15], 4, v[12:13]
	v_mad_u64_u32 v[14:15], s[24:25], s22, v16, 0
	v_mov_b32_e32 v11, v20
	v_mov_b32_e32 v20, v15
	v_mad_u64_u32 v[16:17], s[24:25], s23, v16, v[20:21]
	v_mov_b32_e32 v15, v16
	v_mad_u64_u32 v[16:17], s[24:25], s22, v18, 0
	v_mov_b32_e32 v20, v17
	v_cmp_le_i64_e64 s[8:9], s[8:9], v[18:19]
	v_mad_u64_u32 v[18:19], s[22:23], s23, v18, v[20:21]
	v_mov_b32_e32 v17, v18
	v_lshl_add_u64 v[14:15], v[14:15], 4, s[20:21]
	v_lshl_add_u64 v[16:17], v[16:17], 4, s[20:21]
	v_mad_u64_u32 v[18:19], s[20:21], s18, v2, 0
	v_mov_b32_e32 v20, v19
	v_mad_u64_u32 v[20:21], s[20:21], s19, v2, v[20:21]
	v_or_b32_e32 v23, 24, v2
	v_mov_b32_e32 v19, v20
	v_mad_u64_u32 v[20:21], s[20:21], s18, v23, 0
	v_mov_b32_e32 v22, v21
	v_mad_u64_u32 v[22:23], s[20:21], s19, v23, v[22:23]
	v_or_b32_e32 v25, 16, v2
	v_mov_b32_e32 v21, v22
	v_mad_u64_u32 v[22:23], s[20:21], s18, v25, 0
	v_mov_b32_e32 v24, v23
	v_lshlrev_b32_e32 v4, 4, v0
	s_lshl_b64 s[16:17], s[18:19], 9
	v_mad_u64_u32 v[24:25], s[18:19], s19, v25, v[24:25]
	v_lshl_or_b32 v28, v2, 9, v4
	v_mov_b32_e32 v23, v24
	v_or_b32_e32 v30, 0x1000, v28
	v_or_b32_e32 v31, 0x2000, v28
	;; [unrolled: 1-line block ×3, first 2 shown]
	v_lshl_add_u64 v[6:7], v[6:7], 0, 8
	v_lshl_add_u64 v[8:9], v[8:9], 0, 8
	v_lshlrev_b64 v[10:11], 4, v[10:11]
	v_lshl_add_u64 v[14:15], v[14:15], 0, 8
	v_lshl_add_u64 v[16:17], v[16:17], 0, 8
	v_lshlrev_b64 v[18:19], 4, v[18:19]
	v_lshlrev_b64 v[20:21], 4, v[20:21]
	;; [unrolled: 1-line block ×3, first 2 shown]
	s_mov_b64 s[18:19], 0
	s_mov_b64 s[20:21], 0x200
	v_mov_b64_e32 v[24:25], s[10:11]
	s_branch .LBB14_3
.LBB14_2:                               ;   in Loop: Header=BB14_3 Depth=1
	s_or_b64 exec, exec, s[22:23]
	s_add_u32 s18, s18, 32
	s_addc_u32 s19, s19, 0
	v_cmp_lt_i64_e32 vcc, s[18:19], v[24:25]
	v_lshl_add_u64 v[6:7], v[6:7], 0, s[20:21]
	v_lshl_add_u64 v[8:9], v[8:9], 0, s[20:21]
	;; [unrolled: 1-line block ×5, first 2 shown]
	s_cbranch_vccz .LBB14_20
.LBB14_3:                               ; =>This Inner Loop Header: Depth=1
	v_lshl_add_u64 v[26:27], v[2:3], 0, s[18:19]
	v_cmp_gt_i64_e32 vcc, s[10:11], v[26:27]
	s_and_b64 s[24:25], s[0:1], vcc
	s_barrier
	s_and_saveexec_b64 s[22:23], s[24:25]
	s_cbranch_execz .LBB14_5
; %bb.4:                                ;   in Loop: Header=BB14_3 Depth=1
	v_lshl_add_u64 v[34:35], v[12:13], 0, v[18:19]
	global_load_dwordx4 v[34:37], v[34:35], off
	s_waitcnt vmcnt(0)
	ds_write2_b64 v28, v[34:35], v[36:37] offset1:1
.LBB14_5:                               ;   in Loop: Header=BB14_3 Depth=1
	s_or_b64 exec, exec, s[22:23]
	s_and_saveexec_b64 s[22:23], s[0:1]
	s_cbranch_execz .LBB14_12
; %bb.6:                                ;   in Loop: Header=BB14_3 Depth=1
	v_lshl_add_u64 v[34:35], v[26:27], 0, 8
	v_cmp_gt_i64_e32 vcc, s[10:11], v[34:35]
	s_and_saveexec_b64 s[24:25], vcc
	s_cbranch_execz .LBB14_8
; %bb.7:                                ;   in Loop: Header=BB14_3 Depth=1
	v_lshl_add_u64 v[34:35], v[12:13], 0, v[10:11]
	global_load_dwordx4 v[34:37], v[34:35], off
	s_waitcnt vmcnt(0)
	ds_write2_b64 v30, v[34:35], v[36:37] offset1:1
.LBB14_8:                               ;   in Loop: Header=BB14_3 Depth=1
	s_or_b64 exec, exec, s[24:25]
	v_lshl_add_u64 v[34:35], v[26:27], 0, 16
	v_cmp_gt_i64_e32 vcc, s[10:11], v[34:35]
	s_and_saveexec_b64 s[24:25], vcc
	s_cbranch_execz .LBB14_10
; %bb.9:                                ;   in Loop: Header=BB14_3 Depth=1
	v_lshl_add_u64 v[34:35], v[12:13], 0, v[22:23]
	global_load_dwordx4 v[34:37], v[34:35], off
	s_waitcnt vmcnt(0)
	ds_write2_b64 v31, v[34:35], v[36:37] offset1:1
.LBB14_10:                              ;   in Loop: Header=BB14_3 Depth=1
	s_or_b64 exec, exec, s[24:25]
	v_lshl_add_u64 v[26:27], v[26:27], 0, 24
	v_cmp_gt_i64_e32 vcc, s[10:11], v[26:27]
	s_and_b64 exec, exec, vcc
	s_cbranch_execz .LBB14_12
; %bb.11:                               ;   in Loop: Header=BB14_3 Depth=1
	v_lshl_add_u64 v[26:27], v[12:13], 0, v[20:21]
	global_load_dwordx4 v[34:37], v[26:27], off
	s_waitcnt vmcnt(0)
	ds_write2_b64 v32, v[34:35], v[36:37] offset1:1
.LBB14_12:                              ;   in Loop: Header=BB14_3 Depth=1
	s_or_b64 exec, exec, s[22:23]
	v_lshl_add_u64 v[26:27], v[0:1], 0, s[18:19]
	v_cmp_le_i64_e32 vcc, s[10:11], v[26:27]
	s_nor_b64 s[24:25], vcc, s[2:3]
	s_waitcnt lgkmcnt(0)
	s_barrier
	s_and_saveexec_b64 s[22:23], s[24:25]
	s_cbranch_execnz .LBB14_16
; %bb.13:                               ;   in Loop: Header=BB14_3 Depth=1
	s_or_b64 exec, exec, s[22:23]
	s_nor_b64 s[24:25], vcc, s[4:5]
	s_and_saveexec_b64 s[22:23], s[24:25]
	s_cbranch_execnz .LBB14_17
.LBB14_14:                              ;   in Loop: Header=BB14_3 Depth=1
	s_or_b64 exec, exec, s[22:23]
	s_nor_b64 s[24:25], vcc, s[6:7]
	s_and_saveexec_b64 s[22:23], s[24:25]
	s_cbranch_execnz .LBB14_18
.LBB14_15:                              ;   in Loop: Header=BB14_3 Depth=1
	s_or_b64 exec, exec, s[22:23]
	s_nor_b64 s[24:25], vcc, s[8:9]
	s_and_saveexec_b64 s[22:23], s[24:25]
	s_cbranch_execz .LBB14_2
	s_branch .LBB14_19
.LBB14_16:                              ;   in Loop: Header=BB14_3 Depth=1
	ds_read_b128 v[34:37], v29
	v_lshl_add_u64 v[26:27], v[6:7], 0, v[4:5]
	s_waitcnt lgkmcnt(0)
	v_mul_f64 v[38:39], v[36:37], -s[14:15]
	v_mul_f64 v[40:41], s[12:13], v[36:37]
	v_fmac_f64_e32 v[38:39], s[12:13], v[34:35]
	v_fmac_f64_e32 v[40:41], s[14:15], v[34:35]
	global_store_dwordx4 v[26:27], v[38:41], off offset:-8
	s_or_b64 exec, exec, s[22:23]
	s_nor_b64 s[24:25], vcc, s[4:5]
	s_and_saveexec_b64 s[22:23], s[24:25]
	s_cbranch_execz .LBB14_14
.LBB14_17:                              ;   in Loop: Header=BB14_3 Depth=1
	ds_read_b128 v[34:37], v29 offset:128
	v_lshl_add_u64 v[26:27], v[8:9], 0, v[4:5]
	s_waitcnt lgkmcnt(0)
	v_mul_f64 v[38:39], v[36:37], -s[14:15]
	v_mul_f64 v[40:41], s[12:13], v[36:37]
	v_fmac_f64_e32 v[38:39], s[12:13], v[34:35]
	v_fmac_f64_e32 v[40:41], s[14:15], v[34:35]
	global_store_dwordx4 v[26:27], v[38:41], off offset:-8
	s_or_b64 exec, exec, s[22:23]
	s_nor_b64 s[24:25], vcc, s[6:7]
	s_and_saveexec_b64 s[22:23], s[24:25]
	s_cbranch_execz .LBB14_15
.LBB14_18:                              ;   in Loop: Header=BB14_3 Depth=1
	ds_read_b128 v[34:37], v29 offset:256
	v_lshl_add_u64 v[26:27], v[14:15], 0, v[4:5]
	s_waitcnt lgkmcnt(0)
	v_mul_f64 v[38:39], v[36:37], -s[14:15]
	v_mul_f64 v[40:41], s[12:13], v[36:37]
	v_fmac_f64_e32 v[38:39], s[12:13], v[34:35]
	v_fmac_f64_e32 v[40:41], s[14:15], v[34:35]
	global_store_dwordx4 v[26:27], v[38:41], off offset:-8
	s_or_b64 exec, exec, s[22:23]
	s_nor_b64 s[24:25], vcc, s[8:9]
	s_and_saveexec_b64 s[22:23], s[24:25]
	s_cbranch_execz .LBB14_2
.LBB14_19:                              ;   in Loop: Header=BB14_3 Depth=1
	ds_read_b128 v[34:37], v29 offset:384
	v_lshl_add_u64 v[26:27], v[16:17], 0, v[4:5]
	s_waitcnt lgkmcnt(0)
	v_mul_f64 v[38:39], v[36:37], -s[14:15]
	v_mul_f64 v[40:41], s[12:13], v[36:37]
	v_fmac_f64_e32 v[38:39], s[12:13], v[34:35]
	v_fmac_f64_e32 v[40:41], s[14:15], v[34:35]
	global_store_dwordx4 v[26:27], v[38:41], off offset:-8
	s_branch .LBB14_2
.LBB14_20:
	s_endpgm
	.section	.rodata,"a",@progbits
	.p2align	6, 0x0
	.amdhsa_kernel _ZN9rocsparseL22dense_transpose_kernelILj32ELj8El21rocsparse_complex_numIdES2_EEvT1_S3_T3_PKT2_lPS5_l
		.amdhsa_group_segment_fixed_size 16384
		.amdhsa_private_segment_fixed_size 0
		.amdhsa_kernarg_size 64
		.amdhsa_user_sgpr_count 2
		.amdhsa_user_sgpr_dispatch_ptr 0
		.amdhsa_user_sgpr_queue_ptr 0
		.amdhsa_user_sgpr_kernarg_segment_ptr 1
		.amdhsa_user_sgpr_dispatch_id 0
		.amdhsa_user_sgpr_kernarg_preload_length 0
		.amdhsa_user_sgpr_kernarg_preload_offset 0
		.amdhsa_user_sgpr_private_segment_size 0
		.amdhsa_uses_dynamic_stack 0
		.amdhsa_enable_private_segment 0
		.amdhsa_system_sgpr_workgroup_id_x 1
		.amdhsa_system_sgpr_workgroup_id_y 0
		.amdhsa_system_sgpr_workgroup_id_z 0
		.amdhsa_system_sgpr_workgroup_info 0
		.amdhsa_system_vgpr_workitem_id 0
		.amdhsa_next_free_vgpr 42
		.amdhsa_next_free_sgpr 26
		.amdhsa_accum_offset 44
		.amdhsa_reserve_vcc 1
		.amdhsa_float_round_mode_32 0
		.amdhsa_float_round_mode_16_64 0
		.amdhsa_float_denorm_mode_32 3
		.amdhsa_float_denorm_mode_16_64 3
		.amdhsa_dx10_clamp 1
		.amdhsa_ieee_mode 1
		.amdhsa_fp16_overflow 0
		.amdhsa_tg_split 0
		.amdhsa_exception_fp_ieee_invalid_op 0
		.amdhsa_exception_fp_denorm_src 0
		.amdhsa_exception_fp_ieee_div_zero 0
		.amdhsa_exception_fp_ieee_overflow 0
		.amdhsa_exception_fp_ieee_underflow 0
		.amdhsa_exception_fp_ieee_inexact 0
		.amdhsa_exception_int_div_zero 0
	.end_amdhsa_kernel
	.section	.text._ZN9rocsparseL22dense_transpose_kernelILj32ELj8El21rocsparse_complex_numIdES2_EEvT1_S3_T3_PKT2_lPS5_l,"axG",@progbits,_ZN9rocsparseL22dense_transpose_kernelILj32ELj8El21rocsparse_complex_numIdES2_EEvT1_S3_T3_PKT2_lPS5_l,comdat
.Lfunc_end14:
	.size	_ZN9rocsparseL22dense_transpose_kernelILj32ELj8El21rocsparse_complex_numIdES2_EEvT1_S3_T3_PKT2_lPS5_l, .Lfunc_end14-_ZN9rocsparseL22dense_transpose_kernelILj32ELj8El21rocsparse_complex_numIdES2_EEvT1_S3_T3_PKT2_lPS5_l
                                        ; -- End function
	.set _ZN9rocsparseL22dense_transpose_kernelILj32ELj8El21rocsparse_complex_numIdES2_EEvT1_S3_T3_PKT2_lPS5_l.num_vgpr, 42
	.set _ZN9rocsparseL22dense_transpose_kernelILj32ELj8El21rocsparse_complex_numIdES2_EEvT1_S3_T3_PKT2_lPS5_l.num_agpr, 0
	.set _ZN9rocsparseL22dense_transpose_kernelILj32ELj8El21rocsparse_complex_numIdES2_EEvT1_S3_T3_PKT2_lPS5_l.numbered_sgpr, 26
	.set _ZN9rocsparseL22dense_transpose_kernelILj32ELj8El21rocsparse_complex_numIdES2_EEvT1_S3_T3_PKT2_lPS5_l.num_named_barrier, 0
	.set _ZN9rocsparseL22dense_transpose_kernelILj32ELj8El21rocsparse_complex_numIdES2_EEvT1_S3_T3_PKT2_lPS5_l.private_seg_size, 0
	.set _ZN9rocsparseL22dense_transpose_kernelILj32ELj8El21rocsparse_complex_numIdES2_EEvT1_S3_T3_PKT2_lPS5_l.uses_vcc, 1
	.set _ZN9rocsparseL22dense_transpose_kernelILj32ELj8El21rocsparse_complex_numIdES2_EEvT1_S3_T3_PKT2_lPS5_l.uses_flat_scratch, 0
	.set _ZN9rocsparseL22dense_transpose_kernelILj32ELj8El21rocsparse_complex_numIdES2_EEvT1_S3_T3_PKT2_lPS5_l.has_dyn_sized_stack, 0
	.set _ZN9rocsparseL22dense_transpose_kernelILj32ELj8El21rocsparse_complex_numIdES2_EEvT1_S3_T3_PKT2_lPS5_l.has_recursion, 0
	.set _ZN9rocsparseL22dense_transpose_kernelILj32ELj8El21rocsparse_complex_numIdES2_EEvT1_S3_T3_PKT2_lPS5_l.has_indirect_call, 0
	.section	.AMDGPU.csdata,"",@progbits
; Kernel info:
; codeLenInByte = 1152
; TotalNumSgprs: 32
; NumVgprs: 42
; NumAgprs: 0
; TotalNumVgprs: 42
; ScratchSize: 0
; MemoryBound: 0
; FloatMode: 240
; IeeeMode: 1
; LDSByteSize: 16384 bytes/workgroup (compile time only)
; SGPRBlocks: 3
; VGPRBlocks: 5
; NumSGPRsForWavesPerEU: 32
; NumVGPRsForWavesPerEU: 42
; AccumOffset: 44
; Occupancy: 8
; WaveLimiterHint : 0
; COMPUTE_PGM_RSRC2:SCRATCH_EN: 0
; COMPUTE_PGM_RSRC2:USER_SGPR: 2
; COMPUTE_PGM_RSRC2:TRAP_HANDLER: 0
; COMPUTE_PGM_RSRC2:TGID_X_EN: 1
; COMPUTE_PGM_RSRC2:TGID_Y_EN: 0
; COMPUTE_PGM_RSRC2:TGID_Z_EN: 0
; COMPUTE_PGM_RSRC2:TIDIG_COMP_CNT: 0
; COMPUTE_PGM_RSRC3_GFX90A:ACCUM_OFFSET: 10
; COMPUTE_PGM_RSRC3_GFX90A:TG_SPLIT: 0
	.section	.text._ZN9rocsparseL22dense_transpose_kernelILj32ELj8El21rocsparse_complex_numIdEPKS2_EEvT1_S5_T3_PKT2_lPS7_l,"axG",@progbits,_ZN9rocsparseL22dense_transpose_kernelILj32ELj8El21rocsparse_complex_numIdEPKS2_EEvT1_S5_T3_PKT2_lPS7_l,comdat
	.globl	_ZN9rocsparseL22dense_transpose_kernelILj32ELj8El21rocsparse_complex_numIdEPKS2_EEvT1_S5_T3_PKT2_lPS7_l ; -- Begin function _ZN9rocsparseL22dense_transpose_kernelILj32ELj8El21rocsparse_complex_numIdEPKS2_EEvT1_S5_T3_PKT2_lPS7_l
	.p2align	8
	.type	_ZN9rocsparseL22dense_transpose_kernelILj32ELj8El21rocsparse_complex_numIdEPKS2_EEvT1_S5_T3_PKT2_lPS7_l,@function
_ZN9rocsparseL22dense_transpose_kernelILj32ELj8El21rocsparse_complex_numIdEPKS2_EEvT1_S5_T3_PKT2_lPS7_l: ; @_ZN9rocsparseL22dense_transpose_kernelILj32ELj8El21rocsparse_complex_numIdEPKS2_EEvT1_S5_T3_PKT2_lPS7_l
; %bb.0:
	s_load_dwordx8 s[8:15], s[0:1], 0x0
	s_waitcnt lgkmcnt(0)
	v_cmp_lt_i64_e64 s[4:5], s[10:11], 1
	s_and_b64 vcc, exec, s[4:5]
	s_cbranch_vccnz .LBB15_20
; %bb.1:
	s_load_dwordx8 s[16:23], s[0:1], 0x20
	s_lshl_b32 s0, s2, 5
	v_lshrrev_b32_e32 v2, 5, v0
	v_or_b32_e32 v6, s0, v2
	s_load_dwordx4 s[24:27], s[12:13], 0x0
	s_waitcnt lgkmcnt(0)
	v_mad_u64_u32 v[10:11], s[12:13], s20, v6, 0
	v_mov_b32_e32 v7, 0
	v_and_b32_e32 v0, 31, v0
	v_lshlrev_b32_e32 v5, 4, v2
	v_mov_b32_e32 v20, v11
	v_mov_b32_e32 v15, v7
	;; [unrolled: 1-line block ×4, first 2 shown]
	v_lshl_or_b32 v29, v0, 9, v5
	v_cmp_le_i64_e64 s[2:3], s[8:9], v[6:7]
	v_or_b32_e32 v8, 8, v6
	v_mov_b32_e32 v9, v7
	v_or_b32_e32 v16, 16, v6
	v_mov_b32_e32 v17, v7
	;; [unrolled: 2-line block ×3, first 2 shown]
	v_mov_b32_e32 v5, v7
	v_mad_u64_u32 v[6:7], s[12:13], s21, v6, v[20:21]
	v_mov_b32_e32 v11, v6
	v_lshl_add_u64 v[6:7], v[10:11], 4, s[18:19]
	v_mad_u64_u32 v[10:11], s[12:13], s20, v8, 0
	v_mov_b32_e32 v20, v11
	v_cmp_le_i64_e64 s[4:5], s[8:9], v[8:9]
	v_mad_u64_u32 v[8:9], s[12:13], s21, v8, v[20:21]
	v_cmp_le_i64_e64 s[6:7], s[8:9], v[16:17]
	v_mov_b32_e32 v11, v8
	v_or_b32_e32 v17, 8, v2
	v_lshl_add_u64 v[8:9], v[10:11], 4, s[18:19]
	v_mad_u64_u32 v[10:11], s[12:13], s16, v17, 0
	v_mov_b32_e32 v12, s14
	v_mov_b32_e32 v13, s15
	v_or_b32_e32 v14, s0, v0
	v_mov_b32_e32 v20, v11
	v_cmp_gt_i64_e64 s[0:1], s[8:9], v[14:15]
	v_mad_u64_u32 v[20:21], s[12:13], s17, v17, v[20:21]
	v_lshl_add_u64 v[12:13], v[14:15], 4, v[12:13]
	v_mad_u64_u32 v[14:15], s[14:15], s20, v16, 0
	v_mov_b32_e32 v11, v20
	v_mov_b32_e32 v20, v15
	v_mad_u64_u32 v[16:17], s[14:15], s21, v16, v[20:21]
	v_mov_b32_e32 v15, v16
	v_mad_u64_u32 v[16:17], s[14:15], s20, v18, 0
	v_mov_b32_e32 v20, v17
	v_cmp_le_i64_e64 s[8:9], s[8:9], v[18:19]
	v_mad_u64_u32 v[18:19], s[14:15], s21, v18, v[20:21]
	v_mov_b32_e32 v17, v18
	v_mad_u64_u32 v[18:19], s[14:15], s16, v2, 0
	v_mov_b32_e32 v20, v19
	v_mad_u64_u32 v[20:21], s[14:15], s17, v2, v[20:21]
	v_or_b32_e32 v23, 24, v2
	v_mov_b32_e32 v19, v20
	v_mad_u64_u32 v[20:21], s[14:15], s16, v23, 0
	v_mov_b32_e32 v22, v21
	v_mad_u64_u32 v[22:23], s[14:15], s17, v23, v[22:23]
	v_or_b32_e32 v25, 16, v2
	v_mov_b32_e32 v21, v22
	v_mad_u64_u32 v[22:23], s[14:15], s16, v25, 0
	v_mov_b32_e32 v24, v23
	v_lshlrev_b32_e32 v4, 4, v0
	v_mad_u64_u32 v[24:25], s[14:15], s17, v25, v[24:25]
	v_lshl_or_b32 v28, v2, 9, v4
	v_lshl_add_u64 v[14:15], v[14:15], 4, s[18:19]
	v_lshl_add_u64 v[16:17], v[16:17], 4, s[18:19]
	v_mov_b32_e32 v23, v24
	v_or_b32_e32 v30, 0x1000, v28
	v_or_b32_e32 v31, 0x2000, v28
	;; [unrolled: 1-line block ×3, first 2 shown]
	v_lshl_add_u64 v[6:7], v[6:7], 0, 8
	v_lshl_add_u64 v[8:9], v[8:9], 0, 8
	v_lshlrev_b64 v[10:11], 4, v[10:11]
	s_lshl_b64 s[12:13], s[16:17], 9
	v_lshl_add_u64 v[14:15], v[14:15], 0, 8
	v_lshl_add_u64 v[16:17], v[16:17], 0, 8
	v_lshlrev_b64 v[18:19], 4, v[18:19]
	v_lshlrev_b64 v[20:21], 4, v[20:21]
	;; [unrolled: 1-line block ×3, first 2 shown]
	s_mov_b64 s[14:15], 0
	s_mov_b64 s[16:17], 0x200
	v_mov_b64_e32 v[24:25], s[10:11]
	s_branch .LBB15_3
.LBB15_2:                               ;   in Loop: Header=BB15_3 Depth=1
	s_or_b64 exec, exec, s[18:19]
	s_add_u32 s14, s14, 32
	s_addc_u32 s15, s15, 0
	v_cmp_lt_i64_e32 vcc, s[14:15], v[24:25]
	v_lshl_add_u64 v[6:7], v[6:7], 0, s[16:17]
	v_lshl_add_u64 v[8:9], v[8:9], 0, s[16:17]
	;; [unrolled: 1-line block ×5, first 2 shown]
	s_cbranch_vccz .LBB15_20
.LBB15_3:                               ; =>This Inner Loop Header: Depth=1
	v_lshl_add_u64 v[26:27], v[2:3], 0, s[14:15]
	v_cmp_gt_i64_e32 vcc, s[10:11], v[26:27]
	s_and_b64 s[20:21], s[0:1], vcc
	s_barrier
	s_and_saveexec_b64 s[18:19], s[20:21]
	s_cbranch_execz .LBB15_5
; %bb.4:                                ;   in Loop: Header=BB15_3 Depth=1
	v_lshl_add_u64 v[34:35], v[12:13], 0, v[18:19]
	global_load_dwordx4 v[34:37], v[34:35], off
	s_waitcnt vmcnt(0)
	ds_write2_b64 v28, v[34:35], v[36:37] offset1:1
.LBB15_5:                               ;   in Loop: Header=BB15_3 Depth=1
	s_or_b64 exec, exec, s[18:19]
	s_and_saveexec_b64 s[18:19], s[0:1]
	s_cbranch_execz .LBB15_12
; %bb.6:                                ;   in Loop: Header=BB15_3 Depth=1
	v_lshl_add_u64 v[34:35], v[26:27], 0, 8
	v_cmp_gt_i64_e32 vcc, s[10:11], v[34:35]
	s_and_saveexec_b64 s[20:21], vcc
	s_cbranch_execz .LBB15_8
; %bb.7:                                ;   in Loop: Header=BB15_3 Depth=1
	v_lshl_add_u64 v[34:35], v[12:13], 0, v[10:11]
	global_load_dwordx4 v[34:37], v[34:35], off
	s_waitcnt vmcnt(0)
	ds_write2_b64 v30, v[34:35], v[36:37] offset1:1
.LBB15_8:                               ;   in Loop: Header=BB15_3 Depth=1
	s_or_b64 exec, exec, s[20:21]
	v_lshl_add_u64 v[34:35], v[26:27], 0, 16
	v_cmp_gt_i64_e32 vcc, s[10:11], v[34:35]
	s_and_saveexec_b64 s[20:21], vcc
	s_cbranch_execz .LBB15_10
; %bb.9:                                ;   in Loop: Header=BB15_3 Depth=1
	v_lshl_add_u64 v[34:35], v[12:13], 0, v[22:23]
	global_load_dwordx4 v[34:37], v[34:35], off
	s_waitcnt vmcnt(0)
	ds_write2_b64 v31, v[34:35], v[36:37] offset1:1
.LBB15_10:                              ;   in Loop: Header=BB15_3 Depth=1
	s_or_b64 exec, exec, s[20:21]
	v_lshl_add_u64 v[26:27], v[26:27], 0, 24
	v_cmp_gt_i64_e32 vcc, s[10:11], v[26:27]
	s_and_b64 exec, exec, vcc
	s_cbranch_execz .LBB15_12
; %bb.11:                               ;   in Loop: Header=BB15_3 Depth=1
	v_lshl_add_u64 v[26:27], v[12:13], 0, v[20:21]
	global_load_dwordx4 v[34:37], v[26:27], off
	s_waitcnt vmcnt(0)
	ds_write2_b64 v32, v[34:35], v[36:37] offset1:1
.LBB15_12:                              ;   in Loop: Header=BB15_3 Depth=1
	s_or_b64 exec, exec, s[18:19]
	v_lshl_add_u64 v[26:27], v[0:1], 0, s[14:15]
	v_cmp_le_i64_e32 vcc, s[10:11], v[26:27]
	s_nor_b64 s[20:21], vcc, s[2:3]
	s_waitcnt lgkmcnt(0)
	s_barrier
	s_and_saveexec_b64 s[18:19], s[20:21]
	s_cbranch_execnz .LBB15_16
; %bb.13:                               ;   in Loop: Header=BB15_3 Depth=1
	s_or_b64 exec, exec, s[18:19]
	s_nor_b64 s[20:21], vcc, s[4:5]
	s_and_saveexec_b64 s[18:19], s[20:21]
	s_cbranch_execnz .LBB15_17
.LBB15_14:                              ;   in Loop: Header=BB15_3 Depth=1
	s_or_b64 exec, exec, s[18:19]
	s_nor_b64 s[20:21], vcc, s[6:7]
	s_and_saveexec_b64 s[18:19], s[20:21]
	s_cbranch_execnz .LBB15_18
.LBB15_15:                              ;   in Loop: Header=BB15_3 Depth=1
	s_or_b64 exec, exec, s[18:19]
	s_nor_b64 s[20:21], vcc, s[8:9]
	s_and_saveexec_b64 s[18:19], s[20:21]
	s_cbranch_execz .LBB15_2
	s_branch .LBB15_19
.LBB15_16:                              ;   in Loop: Header=BB15_3 Depth=1
	ds_read_b128 v[34:37], v29
	v_lshl_add_u64 v[26:27], v[6:7], 0, v[4:5]
	s_waitcnt lgkmcnt(0)
	v_mul_f64 v[38:39], v[36:37], -s[26:27]
	v_mul_f64 v[40:41], s[24:25], v[36:37]
	v_fmac_f64_e32 v[38:39], s[24:25], v[34:35]
	v_fmac_f64_e32 v[40:41], s[26:27], v[34:35]
	global_store_dwordx4 v[26:27], v[38:41], off offset:-8
	s_or_b64 exec, exec, s[18:19]
	s_nor_b64 s[20:21], vcc, s[4:5]
	s_and_saveexec_b64 s[18:19], s[20:21]
	s_cbranch_execz .LBB15_14
.LBB15_17:                              ;   in Loop: Header=BB15_3 Depth=1
	ds_read_b128 v[34:37], v29 offset:128
	v_lshl_add_u64 v[26:27], v[8:9], 0, v[4:5]
	s_waitcnt lgkmcnt(0)
	v_mul_f64 v[38:39], v[36:37], -s[26:27]
	v_mul_f64 v[40:41], s[24:25], v[36:37]
	v_fmac_f64_e32 v[38:39], s[24:25], v[34:35]
	v_fmac_f64_e32 v[40:41], s[26:27], v[34:35]
	global_store_dwordx4 v[26:27], v[38:41], off offset:-8
	s_or_b64 exec, exec, s[18:19]
	s_nor_b64 s[20:21], vcc, s[6:7]
	s_and_saveexec_b64 s[18:19], s[20:21]
	s_cbranch_execz .LBB15_15
.LBB15_18:                              ;   in Loop: Header=BB15_3 Depth=1
	ds_read_b128 v[34:37], v29 offset:256
	v_lshl_add_u64 v[26:27], v[14:15], 0, v[4:5]
	s_waitcnt lgkmcnt(0)
	v_mul_f64 v[38:39], v[36:37], -s[26:27]
	v_mul_f64 v[40:41], s[24:25], v[36:37]
	v_fmac_f64_e32 v[38:39], s[24:25], v[34:35]
	v_fmac_f64_e32 v[40:41], s[26:27], v[34:35]
	global_store_dwordx4 v[26:27], v[38:41], off offset:-8
	s_or_b64 exec, exec, s[18:19]
	s_nor_b64 s[20:21], vcc, s[8:9]
	s_and_saveexec_b64 s[18:19], s[20:21]
	s_cbranch_execz .LBB15_2
.LBB15_19:                              ;   in Loop: Header=BB15_3 Depth=1
	ds_read_b128 v[34:37], v29 offset:384
	v_lshl_add_u64 v[26:27], v[16:17], 0, v[4:5]
	s_waitcnt lgkmcnt(0)
	v_mul_f64 v[38:39], v[36:37], -s[26:27]
	v_mul_f64 v[40:41], s[24:25], v[36:37]
	v_fmac_f64_e32 v[38:39], s[24:25], v[34:35]
	v_fmac_f64_e32 v[40:41], s[26:27], v[34:35]
	global_store_dwordx4 v[26:27], v[38:41], off offset:-8
	s_branch .LBB15_2
.LBB15_20:
	s_endpgm
	.section	.rodata,"a",@progbits
	.p2align	6, 0x0
	.amdhsa_kernel _ZN9rocsparseL22dense_transpose_kernelILj32ELj8El21rocsparse_complex_numIdEPKS2_EEvT1_S5_T3_PKT2_lPS7_l
		.amdhsa_group_segment_fixed_size 16384
		.amdhsa_private_segment_fixed_size 0
		.amdhsa_kernarg_size 56
		.amdhsa_user_sgpr_count 2
		.amdhsa_user_sgpr_dispatch_ptr 0
		.amdhsa_user_sgpr_queue_ptr 0
		.amdhsa_user_sgpr_kernarg_segment_ptr 1
		.amdhsa_user_sgpr_dispatch_id 0
		.amdhsa_user_sgpr_kernarg_preload_length 0
		.amdhsa_user_sgpr_kernarg_preload_offset 0
		.amdhsa_user_sgpr_private_segment_size 0
		.amdhsa_uses_dynamic_stack 0
		.amdhsa_enable_private_segment 0
		.amdhsa_system_sgpr_workgroup_id_x 1
		.amdhsa_system_sgpr_workgroup_id_y 0
		.amdhsa_system_sgpr_workgroup_id_z 0
		.amdhsa_system_sgpr_workgroup_info 0
		.amdhsa_system_vgpr_workitem_id 0
		.amdhsa_next_free_vgpr 42
		.amdhsa_next_free_sgpr 28
		.amdhsa_accum_offset 44
		.amdhsa_reserve_vcc 1
		.amdhsa_float_round_mode_32 0
		.amdhsa_float_round_mode_16_64 0
		.amdhsa_float_denorm_mode_32 3
		.amdhsa_float_denorm_mode_16_64 3
		.amdhsa_dx10_clamp 1
		.amdhsa_ieee_mode 1
		.amdhsa_fp16_overflow 0
		.amdhsa_tg_split 0
		.amdhsa_exception_fp_ieee_invalid_op 0
		.amdhsa_exception_fp_denorm_src 0
		.amdhsa_exception_fp_ieee_div_zero 0
		.amdhsa_exception_fp_ieee_overflow 0
		.amdhsa_exception_fp_ieee_underflow 0
		.amdhsa_exception_fp_ieee_inexact 0
		.amdhsa_exception_int_div_zero 0
	.end_amdhsa_kernel
	.section	.text._ZN9rocsparseL22dense_transpose_kernelILj32ELj8El21rocsparse_complex_numIdEPKS2_EEvT1_S5_T3_PKT2_lPS7_l,"axG",@progbits,_ZN9rocsparseL22dense_transpose_kernelILj32ELj8El21rocsparse_complex_numIdEPKS2_EEvT1_S5_T3_PKT2_lPS7_l,comdat
.Lfunc_end15:
	.size	_ZN9rocsparseL22dense_transpose_kernelILj32ELj8El21rocsparse_complex_numIdEPKS2_EEvT1_S5_T3_PKT2_lPS7_l, .Lfunc_end15-_ZN9rocsparseL22dense_transpose_kernelILj32ELj8El21rocsparse_complex_numIdEPKS2_EEvT1_S5_T3_PKT2_lPS7_l
                                        ; -- End function
	.set _ZN9rocsparseL22dense_transpose_kernelILj32ELj8El21rocsparse_complex_numIdEPKS2_EEvT1_S5_T3_PKT2_lPS7_l.num_vgpr, 42
	.set _ZN9rocsparseL22dense_transpose_kernelILj32ELj8El21rocsparse_complex_numIdEPKS2_EEvT1_S5_T3_PKT2_lPS7_l.num_agpr, 0
	.set _ZN9rocsparseL22dense_transpose_kernelILj32ELj8El21rocsparse_complex_numIdEPKS2_EEvT1_S5_T3_PKT2_lPS7_l.numbered_sgpr, 28
	.set _ZN9rocsparseL22dense_transpose_kernelILj32ELj8El21rocsparse_complex_numIdEPKS2_EEvT1_S5_T3_PKT2_lPS7_l.num_named_barrier, 0
	.set _ZN9rocsparseL22dense_transpose_kernelILj32ELj8El21rocsparse_complex_numIdEPKS2_EEvT1_S5_T3_PKT2_lPS7_l.private_seg_size, 0
	.set _ZN9rocsparseL22dense_transpose_kernelILj32ELj8El21rocsparse_complex_numIdEPKS2_EEvT1_S5_T3_PKT2_lPS7_l.uses_vcc, 1
	.set _ZN9rocsparseL22dense_transpose_kernelILj32ELj8El21rocsparse_complex_numIdEPKS2_EEvT1_S5_T3_PKT2_lPS7_l.uses_flat_scratch, 0
	.set _ZN9rocsparseL22dense_transpose_kernelILj32ELj8El21rocsparse_complex_numIdEPKS2_EEvT1_S5_T3_PKT2_lPS7_l.has_dyn_sized_stack, 0
	.set _ZN9rocsparseL22dense_transpose_kernelILj32ELj8El21rocsparse_complex_numIdEPKS2_EEvT1_S5_T3_PKT2_lPS7_l.has_recursion, 0
	.set _ZN9rocsparseL22dense_transpose_kernelILj32ELj8El21rocsparse_complex_numIdEPKS2_EEvT1_S5_T3_PKT2_lPS7_l.has_indirect_call, 0
	.section	.AMDGPU.csdata,"",@progbits
; Kernel info:
; codeLenInByte = 1172
; TotalNumSgprs: 34
; NumVgprs: 42
; NumAgprs: 0
; TotalNumVgprs: 42
; ScratchSize: 0
; MemoryBound: 0
; FloatMode: 240
; IeeeMode: 1
; LDSByteSize: 16384 bytes/workgroup (compile time only)
; SGPRBlocks: 4
; VGPRBlocks: 5
; NumSGPRsForWavesPerEU: 34
; NumVGPRsForWavesPerEU: 42
; AccumOffset: 44
; Occupancy: 8
; WaveLimiterHint : 0
; COMPUTE_PGM_RSRC2:SCRATCH_EN: 0
; COMPUTE_PGM_RSRC2:USER_SGPR: 2
; COMPUTE_PGM_RSRC2:TRAP_HANDLER: 0
; COMPUTE_PGM_RSRC2:TGID_X_EN: 1
; COMPUTE_PGM_RSRC2:TGID_Y_EN: 0
; COMPUTE_PGM_RSRC2:TGID_Z_EN: 0
; COMPUTE_PGM_RSRC2:TIDIG_COMP_CNT: 0
; COMPUTE_PGM_RSRC3_GFX90A:ACCUM_OFFSET: 10
; COMPUTE_PGM_RSRC3_GFX90A:TG_SPLIT: 0
	.section	.text._ZN9rocsparseL27dense_transpose_back_kernelILj32ELj8EifEEvT1_S1_PKT2_lPS2_l,"axG",@progbits,_ZN9rocsparseL27dense_transpose_back_kernelILj32ELj8EifEEvT1_S1_PKT2_lPS2_l,comdat
	.globl	_ZN9rocsparseL27dense_transpose_back_kernelILj32ELj8EifEEvT1_S1_PKT2_lPS2_l ; -- Begin function _ZN9rocsparseL27dense_transpose_back_kernelILj32ELj8EifEEvT1_S1_PKT2_lPS2_l
	.p2align	8
	.type	_ZN9rocsparseL27dense_transpose_back_kernelILj32ELj8EifEEvT1_S1_PKT2_lPS2_l,@function
_ZN9rocsparseL27dense_transpose_back_kernelILj32ELj8EifEEvT1_S1_PKT2_lPS2_l: ; @_ZN9rocsparseL27dense_transpose_back_kernelILj32ELj8EifEEvT1_S1_PKT2_lPS2_l
; %bb.0:
	s_load_dwordx2 s[10:11], s[0:1], 0x0
	s_waitcnt lgkmcnt(0)
	s_cmp_lt_i32 s11, 1
	s_cbranch_scc1 .LBB16_20
; %bb.1:
	s_load_dwordx8 s[12:19], s[0:1], 0x8
	v_and_b32_e32 v12, 31, v0
	v_lshrrev_b32_e32 v13, 5, v0
	s_lshl_b32 s0, s2, 5
	v_lshlrev_b32_e32 v3, 2, v12
	v_or_b32_e32 v2, s0, v12
	v_lshl_or_b32 v14, v13, 7, v3
	v_lshlrev_b32_e32 v3, 2, v13
	s_waitcnt lgkmcnt(0)
	v_mov_b32_e32 v0, s16
	v_mov_b32_e32 v1, s17
	v_or_b32_e32 v10, s0, v13
	v_lshl_or_b32 v15, v12, 7, v3
	v_ashrrev_i32_e32 v3, 31, v2
	v_cmp_gt_i32_e32 vcc, s10, v2
	v_lshl_add_u64 v[0:1], v[2:3], 2, v[0:1]
	v_mad_u64_u32 v[2:3], s[2:3], s14, v10, 0
	v_mov_b32_e32 v4, v3
	v_mad_u64_u32 v[4:5], s[2:3], s15, v10, v[4:5]
	v_or_b32_e32 v7, 8, v10
	v_mov_b32_e32 v3, v4
	v_mad_u64_u32 v[4:5], s[4:5], s14, v7, 0
	v_mov_b32_e32 v6, v5
	v_cmp_le_u32_e64 s[2:3], s10, v7
	v_mad_u64_u32 v[6:7], s[4:5], s15, v7, v[6:7]
	v_or_b32_e32 v9, 16, v10
	v_mov_b32_e32 v5, v6
	v_mad_u64_u32 v[6:7], s[6:7], s14, v9, 0
	v_mov_b32_e32 v8, v7
	v_cmp_le_u32_e64 s[4:5], s10, v9
	v_mad_u64_u32 v[8:9], s[6:7], s15, v9, v[8:9]
	v_or_b32_e32 v11, 24, v10
	v_mov_b32_e32 v7, v8
	v_mad_u64_u32 v[8:9], s[8:9], s14, v11, 0
	v_cmp_le_u32_e64 s[0:1], s10, v10
	v_mov_b32_e32 v10, v9
	v_cmp_le_u32_e64 s[6:7], s10, v11
	v_mad_u64_u32 v[10:11], s[8:9], s15, v11, v[10:11]
	v_mov_b32_e32 v9, v10
	s_mov_b32 s10, 0
	s_branch .LBB16_3
.LBB16_2:                               ;   in Loop: Header=BB16_3 Depth=1
	s_or_b64 exec, exec, s[14:15]
	s_add_i32 s10, s10, 32
	s_cmp_lt_i32 s10, s11
	s_cbranch_scc0 .LBB16_20
.LBB16_3:                               ; =>This Inner Loop Header: Depth=1
	v_add_u32_e32 v10, s10, v12
	v_cmp_le_i32_e64 s[8:9], s11, v10
	v_ashrrev_i32_e32 v11, 31, v10
	v_lshl_add_u64 v[10:11], v[10:11], 2, s[12:13]
	s_nor_b64 s[16:17], s[8:9], s[0:1]
	s_barrier
	s_and_saveexec_b64 s[14:15], s[16:17]
	s_cbranch_execnz .LBB16_17
; %bb.4:                                ;   in Loop: Header=BB16_3 Depth=1
	s_or_b64 exec, exec, s[14:15]
	s_nor_b64 s[16:17], s[8:9], s[2:3]
	s_and_saveexec_b64 s[14:15], s[16:17]
	s_cbranch_execnz .LBB16_18
.LBB16_5:                               ;   in Loop: Header=BB16_3 Depth=1
	s_or_b64 exec, exec, s[14:15]
	s_nor_b64 s[16:17], s[8:9], s[4:5]
	s_and_saveexec_b64 s[14:15], s[16:17]
	s_cbranch_execnz .LBB16_19
.LBB16_6:                               ;   in Loop: Header=BB16_3 Depth=1
	s_or_b64 exec, exec, s[14:15]
	s_nor_b64 s[14:15], s[8:9], s[6:7]
	s_and_saveexec_b64 s[8:9], s[14:15]
	s_cbranch_execz .LBB16_8
.LBB16_7:                               ;   in Loop: Header=BB16_3 Depth=1
	v_lshl_add_u64 v[10:11], v[8:9], 2, v[10:11]
	global_load_dword v10, v[10:11], off
	s_waitcnt vmcnt(0)
	ds_write_b32 v14, v10 offset:3072
.LBB16_8:                               ;   in Loop: Header=BB16_3 Depth=1
	s_or_b64 exec, exec, s[8:9]
	v_add_u32_e32 v10, s10, v13
	v_cmp_gt_u32_e64 s[8:9], s11, v10
	s_and_b64 s[14:15], vcc, s[8:9]
	s_waitcnt lgkmcnt(0)
	s_barrier
	s_and_saveexec_b64 s[8:9], s[14:15]
	s_cbranch_execz .LBB16_10
; %bb.9:                                ;   in Loop: Header=BB16_3 Depth=1
	ds_read_b32 v11, v15
	v_mad_u64_u32 v[16:17], s[14:15], s18, v10, 0
	v_mov_b32_e32 v18, v17
	v_mad_u64_u32 v[18:19], s[14:15], s19, v10, v[18:19]
	v_mov_b32_e32 v17, v18
	v_lshl_add_u64 v[16:17], v[16:17], 2, v[0:1]
	s_waitcnt lgkmcnt(0)
	global_store_dword v[16:17], v11, off
.LBB16_10:                              ;   in Loop: Header=BB16_3 Depth=1
	s_or_b64 exec, exec, s[8:9]
	s_and_saveexec_b64 s[14:15], vcc
	s_cbranch_execz .LBB16_2
; %bb.11:                               ;   in Loop: Header=BB16_3 Depth=1
	v_add_u32_e32 v11, 8, v10
	v_cmp_gt_u32_e64 s[8:9], s11, v11
	s_and_saveexec_b64 s[16:17], s[8:9]
	s_cbranch_execz .LBB16_13
; %bb.12:                               ;   in Loop: Header=BB16_3 Depth=1
	ds_read_b32 v20, v15 offset:32
	v_mad_u64_u32 v[16:17], s[8:9], s18, v11, 0
	v_mov_b32_e32 v18, v17
	v_mad_u64_u32 v[18:19], s[8:9], s19, v11, v[18:19]
	v_mov_b32_e32 v17, v18
	v_lshl_add_u64 v[16:17], v[16:17], 2, v[0:1]
	s_waitcnt lgkmcnt(0)
	global_store_dword v[16:17], v20, off
.LBB16_13:                              ;   in Loop: Header=BB16_3 Depth=1
	s_or_b64 exec, exec, s[16:17]
	v_add_u32_e32 v11, 16, v10
	v_cmp_gt_u32_e64 s[8:9], s11, v11
	s_and_saveexec_b64 s[16:17], s[8:9]
	s_cbranch_execz .LBB16_15
; %bb.14:                               ;   in Loop: Header=BB16_3 Depth=1
	ds_read_b32 v20, v15 offset:64
	v_mad_u64_u32 v[16:17], s[8:9], s18, v11, 0
	v_mov_b32_e32 v18, v17
	v_mad_u64_u32 v[18:19], s[8:9], s19, v11, v[18:19]
	v_mov_b32_e32 v17, v18
	v_lshl_add_u64 v[16:17], v[16:17], 2, v[0:1]
	s_waitcnt lgkmcnt(0)
	global_store_dword v[16:17], v20, off
.LBB16_15:                              ;   in Loop: Header=BB16_3 Depth=1
	s_or_b64 exec, exec, s[16:17]
	v_add_u32_e32 v10, 24, v10
	v_cmp_gt_u32_e64 s[8:9], s11, v10
	s_and_b64 exec, exec, s[8:9]
	s_cbranch_execz .LBB16_2
; %bb.16:                               ;   in Loop: Header=BB16_3 Depth=1
	ds_read_b32 v19, v15 offset:96
	v_mad_u64_u32 v[16:17], s[8:9], s18, v10, 0
	v_mov_b32_e32 v18, v17
	s_waitcnt lgkmcnt(0)
	v_mad_u64_u32 v[10:11], s[8:9], s19, v10, v[18:19]
	v_mov_b32_e32 v17, v10
	v_lshl_add_u64 v[10:11], v[16:17], 2, v[0:1]
	global_store_dword v[10:11], v19, off
	s_branch .LBB16_2
.LBB16_17:                              ;   in Loop: Header=BB16_3 Depth=1
	v_lshl_add_u64 v[16:17], v[2:3], 2, v[10:11]
	global_load_dword v16, v[16:17], off
	s_waitcnt vmcnt(0)
	ds_write_b32 v14, v16
	s_or_b64 exec, exec, s[14:15]
	s_nor_b64 s[16:17], s[8:9], s[2:3]
	s_and_saveexec_b64 s[14:15], s[16:17]
	s_cbranch_execz .LBB16_5
.LBB16_18:                              ;   in Loop: Header=BB16_3 Depth=1
	v_lshl_add_u64 v[16:17], v[4:5], 2, v[10:11]
	global_load_dword v16, v[16:17], off
	s_waitcnt vmcnt(0)
	ds_write_b32 v14, v16 offset:1024
	s_or_b64 exec, exec, s[14:15]
	s_nor_b64 s[16:17], s[8:9], s[4:5]
	s_and_saveexec_b64 s[14:15], s[16:17]
	s_cbranch_execz .LBB16_6
.LBB16_19:                              ;   in Loop: Header=BB16_3 Depth=1
	v_lshl_add_u64 v[16:17], v[6:7], 2, v[10:11]
	global_load_dword v16, v[16:17], off
	s_waitcnt vmcnt(0)
	ds_write_b32 v14, v16 offset:2048
	s_or_b64 exec, exec, s[14:15]
	s_nor_b64 s[14:15], s[8:9], s[6:7]
	s_and_saveexec_b64 s[8:9], s[14:15]
	s_cbranch_execnz .LBB16_7
	s_branch .LBB16_8
.LBB16_20:
	s_endpgm
	.section	.rodata,"a",@progbits
	.p2align	6, 0x0
	.amdhsa_kernel _ZN9rocsparseL27dense_transpose_back_kernelILj32ELj8EifEEvT1_S1_PKT2_lPS2_l
		.amdhsa_group_segment_fixed_size 4096
		.amdhsa_private_segment_fixed_size 0
		.amdhsa_kernarg_size 40
		.amdhsa_user_sgpr_count 2
		.amdhsa_user_sgpr_dispatch_ptr 0
		.amdhsa_user_sgpr_queue_ptr 0
		.amdhsa_user_sgpr_kernarg_segment_ptr 1
		.amdhsa_user_sgpr_dispatch_id 0
		.amdhsa_user_sgpr_kernarg_preload_length 0
		.amdhsa_user_sgpr_kernarg_preload_offset 0
		.amdhsa_user_sgpr_private_segment_size 0
		.amdhsa_uses_dynamic_stack 0
		.amdhsa_enable_private_segment 0
		.amdhsa_system_sgpr_workgroup_id_x 1
		.amdhsa_system_sgpr_workgroup_id_y 0
		.amdhsa_system_sgpr_workgroup_id_z 0
		.amdhsa_system_sgpr_workgroup_info 0
		.amdhsa_system_vgpr_workitem_id 0
		.amdhsa_next_free_vgpr 21
		.amdhsa_next_free_sgpr 20
		.amdhsa_accum_offset 24
		.amdhsa_reserve_vcc 1
		.amdhsa_float_round_mode_32 0
		.amdhsa_float_round_mode_16_64 0
		.amdhsa_float_denorm_mode_32 3
		.amdhsa_float_denorm_mode_16_64 3
		.amdhsa_dx10_clamp 1
		.amdhsa_ieee_mode 1
		.amdhsa_fp16_overflow 0
		.amdhsa_tg_split 0
		.amdhsa_exception_fp_ieee_invalid_op 0
		.amdhsa_exception_fp_denorm_src 0
		.amdhsa_exception_fp_ieee_div_zero 0
		.amdhsa_exception_fp_ieee_overflow 0
		.amdhsa_exception_fp_ieee_underflow 0
		.amdhsa_exception_fp_ieee_inexact 0
		.amdhsa_exception_int_div_zero 0
	.end_amdhsa_kernel
	.section	.text._ZN9rocsparseL27dense_transpose_back_kernelILj32ELj8EifEEvT1_S1_PKT2_lPS2_l,"axG",@progbits,_ZN9rocsparseL27dense_transpose_back_kernelILj32ELj8EifEEvT1_S1_PKT2_lPS2_l,comdat
.Lfunc_end16:
	.size	_ZN9rocsparseL27dense_transpose_back_kernelILj32ELj8EifEEvT1_S1_PKT2_lPS2_l, .Lfunc_end16-_ZN9rocsparseL27dense_transpose_back_kernelILj32ELj8EifEEvT1_S1_PKT2_lPS2_l
                                        ; -- End function
	.set _ZN9rocsparseL27dense_transpose_back_kernelILj32ELj8EifEEvT1_S1_PKT2_lPS2_l.num_vgpr, 21
	.set _ZN9rocsparseL27dense_transpose_back_kernelILj32ELj8EifEEvT1_S1_PKT2_lPS2_l.num_agpr, 0
	.set _ZN9rocsparseL27dense_transpose_back_kernelILj32ELj8EifEEvT1_S1_PKT2_lPS2_l.numbered_sgpr, 20
	.set _ZN9rocsparseL27dense_transpose_back_kernelILj32ELj8EifEEvT1_S1_PKT2_lPS2_l.num_named_barrier, 0
	.set _ZN9rocsparseL27dense_transpose_back_kernelILj32ELj8EifEEvT1_S1_PKT2_lPS2_l.private_seg_size, 0
	.set _ZN9rocsparseL27dense_transpose_back_kernelILj32ELj8EifEEvT1_S1_PKT2_lPS2_l.uses_vcc, 1
	.set _ZN9rocsparseL27dense_transpose_back_kernelILj32ELj8EifEEvT1_S1_PKT2_lPS2_l.uses_flat_scratch, 0
	.set _ZN9rocsparseL27dense_transpose_back_kernelILj32ELj8EifEEvT1_S1_PKT2_lPS2_l.has_dyn_sized_stack, 0
	.set _ZN9rocsparseL27dense_transpose_back_kernelILj32ELj8EifEEvT1_S1_PKT2_lPS2_l.has_recursion, 0
	.set _ZN9rocsparseL27dense_transpose_back_kernelILj32ELj8EifEEvT1_S1_PKT2_lPS2_l.has_indirect_call, 0
	.section	.AMDGPU.csdata,"",@progbits
; Kernel info:
; codeLenInByte = 848
; TotalNumSgprs: 26
; NumVgprs: 21
; NumAgprs: 0
; TotalNumVgprs: 21
; ScratchSize: 0
; MemoryBound: 0
; FloatMode: 240
; IeeeMode: 1
; LDSByteSize: 4096 bytes/workgroup (compile time only)
; SGPRBlocks: 3
; VGPRBlocks: 2
; NumSGPRsForWavesPerEU: 26
; NumVGPRsForWavesPerEU: 21
; AccumOffset: 24
; Occupancy: 8
; WaveLimiterHint : 0
; COMPUTE_PGM_RSRC2:SCRATCH_EN: 0
; COMPUTE_PGM_RSRC2:USER_SGPR: 2
; COMPUTE_PGM_RSRC2:TRAP_HANDLER: 0
; COMPUTE_PGM_RSRC2:TGID_X_EN: 1
; COMPUTE_PGM_RSRC2:TGID_Y_EN: 0
; COMPUTE_PGM_RSRC2:TGID_Z_EN: 0
; COMPUTE_PGM_RSRC2:TIDIG_COMP_CNT: 0
; COMPUTE_PGM_RSRC3_GFX90A:ACCUM_OFFSET: 5
; COMPUTE_PGM_RSRC3_GFX90A:TG_SPLIT: 0
	.section	.text._ZN9rocsparseL27dense_transpose_back_kernelILj32ELj8EidEEvT1_S1_PKT2_lPS2_l,"axG",@progbits,_ZN9rocsparseL27dense_transpose_back_kernelILj32ELj8EidEEvT1_S1_PKT2_lPS2_l,comdat
	.globl	_ZN9rocsparseL27dense_transpose_back_kernelILj32ELj8EidEEvT1_S1_PKT2_lPS2_l ; -- Begin function _ZN9rocsparseL27dense_transpose_back_kernelILj32ELj8EidEEvT1_S1_PKT2_lPS2_l
	.p2align	8
	.type	_ZN9rocsparseL27dense_transpose_back_kernelILj32ELj8EidEEvT1_S1_PKT2_lPS2_l,@function
_ZN9rocsparseL27dense_transpose_back_kernelILj32ELj8EidEEvT1_S1_PKT2_lPS2_l: ; @_ZN9rocsparseL27dense_transpose_back_kernelILj32ELj8EidEEvT1_S1_PKT2_lPS2_l
; %bb.0:
	s_load_dwordx2 s[10:11], s[0:1], 0x0
	s_waitcnt lgkmcnt(0)
	s_cmp_lt_i32 s11, 1
	s_cbranch_scc1 .LBB17_20
; %bb.1:
	s_load_dwordx8 s[12:19], s[0:1], 0x8
	v_and_b32_e32 v12, 31, v0
	v_lshrrev_b32_e32 v13, 5, v0
	s_lshl_b32 s0, s2, 5
	v_lshlrev_b32_e32 v3, 3, v12
	v_or_b32_e32 v2, s0, v12
	v_lshl_or_b32 v14, v13, 8, v3
	v_lshlrev_b32_e32 v3, 3, v13
	s_waitcnt lgkmcnt(0)
	v_mov_b32_e32 v0, s16
	v_mov_b32_e32 v1, s17
	v_or_b32_e32 v10, s0, v13
	v_lshl_or_b32 v15, v12, 8, v3
	v_ashrrev_i32_e32 v3, 31, v2
	v_cmp_gt_i32_e32 vcc, s10, v2
	v_lshl_add_u64 v[0:1], v[2:3], 3, v[0:1]
	v_mad_u64_u32 v[2:3], s[2:3], s14, v10, 0
	v_mov_b32_e32 v4, v3
	v_mad_u64_u32 v[4:5], s[2:3], s15, v10, v[4:5]
	v_or_b32_e32 v7, 8, v10
	v_mov_b32_e32 v3, v4
	v_mad_u64_u32 v[4:5], s[4:5], s14, v7, 0
	v_mov_b32_e32 v6, v5
	v_cmp_le_u32_e64 s[2:3], s10, v7
	v_mad_u64_u32 v[6:7], s[4:5], s15, v7, v[6:7]
	v_or_b32_e32 v9, 16, v10
	v_mov_b32_e32 v5, v6
	v_mad_u64_u32 v[6:7], s[6:7], s14, v9, 0
	v_mov_b32_e32 v8, v7
	v_cmp_le_u32_e64 s[4:5], s10, v9
	v_mad_u64_u32 v[8:9], s[6:7], s15, v9, v[8:9]
	v_or_b32_e32 v11, 24, v10
	v_mov_b32_e32 v7, v8
	v_mad_u64_u32 v[8:9], s[8:9], s14, v11, 0
	v_cmp_le_u32_e64 s[0:1], s10, v10
	v_mov_b32_e32 v10, v9
	v_cmp_le_u32_e64 s[6:7], s10, v11
	v_mad_u64_u32 v[10:11], s[8:9], s15, v11, v[10:11]
	v_mov_b32_e32 v9, v10
	s_mov_b32 s10, 0
	s_branch .LBB17_3
.LBB17_2:                               ;   in Loop: Header=BB17_3 Depth=1
	s_or_b64 exec, exec, s[14:15]
	s_add_i32 s10, s10, 32
	s_cmp_lt_i32 s10, s11
	s_cbranch_scc0 .LBB17_20
.LBB17_3:                               ; =>This Inner Loop Header: Depth=1
	v_add_u32_e32 v10, s10, v12
	v_cmp_le_i32_e64 s[8:9], s11, v10
	v_ashrrev_i32_e32 v11, 31, v10
	v_lshl_add_u64 v[10:11], v[10:11], 3, s[12:13]
	s_nor_b64 s[16:17], s[8:9], s[0:1]
	s_barrier
	s_and_saveexec_b64 s[14:15], s[16:17]
	s_cbranch_execnz .LBB17_17
; %bb.4:                                ;   in Loop: Header=BB17_3 Depth=1
	s_or_b64 exec, exec, s[14:15]
	s_nor_b64 s[16:17], s[8:9], s[2:3]
	s_and_saveexec_b64 s[14:15], s[16:17]
	s_cbranch_execnz .LBB17_18
.LBB17_5:                               ;   in Loop: Header=BB17_3 Depth=1
	s_or_b64 exec, exec, s[14:15]
	s_nor_b64 s[16:17], s[8:9], s[4:5]
	s_and_saveexec_b64 s[14:15], s[16:17]
	s_cbranch_execnz .LBB17_19
.LBB17_6:                               ;   in Loop: Header=BB17_3 Depth=1
	s_or_b64 exec, exec, s[14:15]
	s_nor_b64 s[14:15], s[8:9], s[6:7]
	s_and_saveexec_b64 s[8:9], s[14:15]
	s_cbranch_execz .LBB17_8
.LBB17_7:                               ;   in Loop: Header=BB17_3 Depth=1
	v_lshl_add_u64 v[10:11], v[8:9], 3, v[10:11]
	global_load_dwordx2 v[10:11], v[10:11], off
	s_waitcnt vmcnt(0)
	ds_write_b64 v14, v[10:11] offset:6144
.LBB17_8:                               ;   in Loop: Header=BB17_3 Depth=1
	s_or_b64 exec, exec, s[8:9]
	v_add_u32_e32 v10, s10, v13
	v_cmp_gt_u32_e64 s[8:9], s11, v10
	s_and_b64 s[14:15], vcc, s[8:9]
	s_waitcnt lgkmcnt(0)
	s_barrier
	s_and_saveexec_b64 s[8:9], s[14:15]
	s_cbranch_execz .LBB17_10
; %bb.9:                                ;   in Loop: Header=BB17_3 Depth=1
	ds_read_b64 v[16:17], v15
	v_mad_u64_u32 v[18:19], s[14:15], s18, v10, 0
	v_mov_b32_e32 v20, v19
	v_mad_u64_u32 v[20:21], s[14:15], s19, v10, v[20:21]
	v_mov_b32_e32 v19, v20
	v_lshl_add_u64 v[18:19], v[18:19], 3, v[0:1]
	s_waitcnt lgkmcnt(0)
	global_store_dwordx2 v[18:19], v[16:17], off
.LBB17_10:                              ;   in Loop: Header=BB17_3 Depth=1
	s_or_b64 exec, exec, s[8:9]
	s_and_saveexec_b64 s[14:15], vcc
	s_cbranch_execz .LBB17_2
; %bb.11:                               ;   in Loop: Header=BB17_3 Depth=1
	v_add_u32_e32 v11, 8, v10
	v_cmp_gt_u32_e64 s[8:9], s11, v11
	s_and_saveexec_b64 s[16:17], s[8:9]
	s_cbranch_execz .LBB17_13
; %bb.12:                               ;   in Loop: Header=BB17_3 Depth=1
	ds_read_b64 v[16:17], v15 offset:64
	v_mad_u64_u32 v[18:19], s[8:9], s18, v11, 0
	v_mov_b32_e32 v20, v19
	v_mad_u64_u32 v[20:21], s[8:9], s19, v11, v[20:21]
	v_mov_b32_e32 v19, v20
	v_lshl_add_u64 v[18:19], v[18:19], 3, v[0:1]
	s_waitcnt lgkmcnt(0)
	global_store_dwordx2 v[18:19], v[16:17], off
.LBB17_13:                              ;   in Loop: Header=BB17_3 Depth=1
	s_or_b64 exec, exec, s[16:17]
	v_add_u32_e32 v11, 16, v10
	v_cmp_gt_u32_e64 s[8:9], s11, v11
	s_and_saveexec_b64 s[16:17], s[8:9]
	s_cbranch_execz .LBB17_15
; %bb.14:                               ;   in Loop: Header=BB17_3 Depth=1
	ds_read_b64 v[16:17], v15 offset:128
	v_mad_u64_u32 v[18:19], s[8:9], s18, v11, 0
	v_mov_b32_e32 v20, v19
	v_mad_u64_u32 v[20:21], s[8:9], s19, v11, v[20:21]
	v_mov_b32_e32 v19, v20
	v_lshl_add_u64 v[18:19], v[18:19], 3, v[0:1]
	s_waitcnt lgkmcnt(0)
	global_store_dwordx2 v[18:19], v[16:17], off
.LBB17_15:                              ;   in Loop: Header=BB17_3 Depth=1
	s_or_b64 exec, exec, s[16:17]
	v_add_u32_e32 v10, 24, v10
	v_cmp_gt_u32_e64 s[8:9], s11, v10
	s_and_b64 exec, exec, s[8:9]
	s_cbranch_execz .LBB17_2
; %bb.16:                               ;   in Loop: Header=BB17_3 Depth=1
	ds_read_b64 v[16:17], v15 offset:192
	v_mad_u64_u32 v[18:19], s[8:9], s18, v10, 0
	v_mov_b32_e32 v20, v19
	v_mad_u64_u32 v[10:11], s[8:9], s19, v10, v[20:21]
	v_mov_b32_e32 v19, v10
	v_lshl_add_u64 v[10:11], v[18:19], 3, v[0:1]
	s_waitcnt lgkmcnt(0)
	global_store_dwordx2 v[10:11], v[16:17], off
	s_branch .LBB17_2
.LBB17_17:                              ;   in Loop: Header=BB17_3 Depth=1
	v_lshl_add_u64 v[16:17], v[2:3], 3, v[10:11]
	global_load_dwordx2 v[16:17], v[16:17], off
	s_waitcnt vmcnt(0)
	ds_write_b64 v14, v[16:17]
	s_or_b64 exec, exec, s[14:15]
	s_nor_b64 s[16:17], s[8:9], s[2:3]
	s_and_saveexec_b64 s[14:15], s[16:17]
	s_cbranch_execz .LBB17_5
.LBB17_18:                              ;   in Loop: Header=BB17_3 Depth=1
	v_lshl_add_u64 v[16:17], v[4:5], 3, v[10:11]
	global_load_dwordx2 v[16:17], v[16:17], off
	s_waitcnt vmcnt(0)
	ds_write_b64 v14, v[16:17] offset:2048
	s_or_b64 exec, exec, s[14:15]
	s_nor_b64 s[16:17], s[8:9], s[4:5]
	s_and_saveexec_b64 s[14:15], s[16:17]
	s_cbranch_execz .LBB17_6
.LBB17_19:                              ;   in Loop: Header=BB17_3 Depth=1
	v_lshl_add_u64 v[16:17], v[6:7], 3, v[10:11]
	global_load_dwordx2 v[16:17], v[16:17], off
	s_waitcnt vmcnt(0)
	ds_write_b64 v14, v[16:17] offset:4096
	s_or_b64 exec, exec, s[14:15]
	s_nor_b64 s[14:15], s[8:9], s[6:7]
	s_and_saveexec_b64 s[8:9], s[14:15]
	s_cbranch_execnz .LBB17_7
	s_branch .LBB17_8
.LBB17_20:
	s_endpgm
	.section	.rodata,"a",@progbits
	.p2align	6, 0x0
	.amdhsa_kernel _ZN9rocsparseL27dense_transpose_back_kernelILj32ELj8EidEEvT1_S1_PKT2_lPS2_l
		.amdhsa_group_segment_fixed_size 8192
		.amdhsa_private_segment_fixed_size 0
		.amdhsa_kernarg_size 40
		.amdhsa_user_sgpr_count 2
		.amdhsa_user_sgpr_dispatch_ptr 0
		.amdhsa_user_sgpr_queue_ptr 0
		.amdhsa_user_sgpr_kernarg_segment_ptr 1
		.amdhsa_user_sgpr_dispatch_id 0
		.amdhsa_user_sgpr_kernarg_preload_length 0
		.amdhsa_user_sgpr_kernarg_preload_offset 0
		.amdhsa_user_sgpr_private_segment_size 0
		.amdhsa_uses_dynamic_stack 0
		.amdhsa_enable_private_segment 0
		.amdhsa_system_sgpr_workgroup_id_x 1
		.amdhsa_system_sgpr_workgroup_id_y 0
		.amdhsa_system_sgpr_workgroup_id_z 0
		.amdhsa_system_sgpr_workgroup_info 0
		.amdhsa_system_vgpr_workitem_id 0
		.amdhsa_next_free_vgpr 22
		.amdhsa_next_free_sgpr 20
		.amdhsa_accum_offset 24
		.amdhsa_reserve_vcc 1
		.amdhsa_float_round_mode_32 0
		.amdhsa_float_round_mode_16_64 0
		.amdhsa_float_denorm_mode_32 3
		.amdhsa_float_denorm_mode_16_64 3
		.amdhsa_dx10_clamp 1
		.amdhsa_ieee_mode 1
		.amdhsa_fp16_overflow 0
		.amdhsa_tg_split 0
		.amdhsa_exception_fp_ieee_invalid_op 0
		.amdhsa_exception_fp_denorm_src 0
		.amdhsa_exception_fp_ieee_div_zero 0
		.amdhsa_exception_fp_ieee_overflow 0
		.amdhsa_exception_fp_ieee_underflow 0
		.amdhsa_exception_fp_ieee_inexact 0
		.amdhsa_exception_int_div_zero 0
	.end_amdhsa_kernel
	.section	.text._ZN9rocsparseL27dense_transpose_back_kernelILj32ELj8EidEEvT1_S1_PKT2_lPS2_l,"axG",@progbits,_ZN9rocsparseL27dense_transpose_back_kernelILj32ELj8EidEEvT1_S1_PKT2_lPS2_l,comdat
.Lfunc_end17:
	.size	_ZN9rocsparseL27dense_transpose_back_kernelILj32ELj8EidEEvT1_S1_PKT2_lPS2_l, .Lfunc_end17-_ZN9rocsparseL27dense_transpose_back_kernelILj32ELj8EidEEvT1_S1_PKT2_lPS2_l
                                        ; -- End function
	.set _ZN9rocsparseL27dense_transpose_back_kernelILj32ELj8EidEEvT1_S1_PKT2_lPS2_l.num_vgpr, 22
	.set _ZN9rocsparseL27dense_transpose_back_kernelILj32ELj8EidEEvT1_S1_PKT2_lPS2_l.num_agpr, 0
	.set _ZN9rocsparseL27dense_transpose_back_kernelILj32ELj8EidEEvT1_S1_PKT2_lPS2_l.numbered_sgpr, 20
	.set _ZN9rocsparseL27dense_transpose_back_kernelILj32ELj8EidEEvT1_S1_PKT2_lPS2_l.num_named_barrier, 0
	.set _ZN9rocsparseL27dense_transpose_back_kernelILj32ELj8EidEEvT1_S1_PKT2_lPS2_l.private_seg_size, 0
	.set _ZN9rocsparseL27dense_transpose_back_kernelILj32ELj8EidEEvT1_S1_PKT2_lPS2_l.uses_vcc, 1
	.set _ZN9rocsparseL27dense_transpose_back_kernelILj32ELj8EidEEvT1_S1_PKT2_lPS2_l.uses_flat_scratch, 0
	.set _ZN9rocsparseL27dense_transpose_back_kernelILj32ELj8EidEEvT1_S1_PKT2_lPS2_l.has_dyn_sized_stack, 0
	.set _ZN9rocsparseL27dense_transpose_back_kernelILj32ELj8EidEEvT1_S1_PKT2_lPS2_l.has_recursion, 0
	.set _ZN9rocsparseL27dense_transpose_back_kernelILj32ELj8EidEEvT1_S1_PKT2_lPS2_l.has_indirect_call, 0
	.section	.AMDGPU.csdata,"",@progbits
; Kernel info:
; codeLenInByte = 848
; TotalNumSgprs: 26
; NumVgprs: 22
; NumAgprs: 0
; TotalNumVgprs: 22
; ScratchSize: 0
; MemoryBound: 0
; FloatMode: 240
; IeeeMode: 1
; LDSByteSize: 8192 bytes/workgroup (compile time only)
; SGPRBlocks: 3
; VGPRBlocks: 2
; NumSGPRsForWavesPerEU: 26
; NumVGPRsForWavesPerEU: 22
; AccumOffset: 24
; Occupancy: 8
; WaveLimiterHint : 0
; COMPUTE_PGM_RSRC2:SCRATCH_EN: 0
; COMPUTE_PGM_RSRC2:USER_SGPR: 2
; COMPUTE_PGM_RSRC2:TRAP_HANDLER: 0
; COMPUTE_PGM_RSRC2:TGID_X_EN: 1
; COMPUTE_PGM_RSRC2:TGID_Y_EN: 0
; COMPUTE_PGM_RSRC2:TGID_Z_EN: 0
; COMPUTE_PGM_RSRC2:TIDIG_COMP_CNT: 0
; COMPUTE_PGM_RSRC3_GFX90A:ACCUM_OFFSET: 5
; COMPUTE_PGM_RSRC3_GFX90A:TG_SPLIT: 0
	.section	.text._ZN9rocsparseL27dense_transpose_back_kernelILj32ELj8Ei21rocsparse_complex_numIfEEEvT1_S3_PKT2_lPS4_l,"axG",@progbits,_ZN9rocsparseL27dense_transpose_back_kernelILj32ELj8Ei21rocsparse_complex_numIfEEEvT1_S3_PKT2_lPS4_l,comdat
	.globl	_ZN9rocsparseL27dense_transpose_back_kernelILj32ELj8Ei21rocsparse_complex_numIfEEEvT1_S3_PKT2_lPS4_l ; -- Begin function _ZN9rocsparseL27dense_transpose_back_kernelILj32ELj8Ei21rocsparse_complex_numIfEEEvT1_S3_PKT2_lPS4_l
	.p2align	8
	.type	_ZN9rocsparseL27dense_transpose_back_kernelILj32ELj8Ei21rocsparse_complex_numIfEEEvT1_S3_PKT2_lPS4_l,@function
_ZN9rocsparseL27dense_transpose_back_kernelILj32ELj8Ei21rocsparse_complex_numIfEEEvT1_S3_PKT2_lPS4_l: ; @_ZN9rocsparseL27dense_transpose_back_kernelILj32ELj8Ei21rocsparse_complex_numIfEEEvT1_S3_PKT2_lPS4_l
; %bb.0:
	s_load_dwordx2 s[10:11], s[0:1], 0x0
	s_waitcnt lgkmcnt(0)
	s_cmp_lt_i32 s11, 1
	s_cbranch_scc1 .LBB18_20
; %bb.1:
	s_load_dwordx8 s[12:19], s[0:1], 0x8
	v_and_b32_e32 v12, 31, v0
	v_lshrrev_b32_e32 v13, 5, v0
	s_lshl_b32 s0, s2, 5
	v_lshlrev_b32_e32 v3, 3, v12
	v_or_b32_e32 v2, s0, v12
	v_lshl_or_b32 v14, v13, 8, v3
	v_lshlrev_b32_e32 v3, 3, v13
	s_waitcnt lgkmcnt(0)
	v_mov_b32_e32 v0, s16
	v_mov_b32_e32 v1, s17
	v_or_b32_e32 v10, s0, v13
	v_lshl_or_b32 v15, v12, 8, v3
	v_ashrrev_i32_e32 v3, 31, v2
	v_cmp_gt_i32_e32 vcc, s10, v2
	v_lshl_add_u64 v[0:1], v[2:3], 3, v[0:1]
	v_mad_u64_u32 v[2:3], s[2:3], s14, v10, 0
	v_mov_b32_e32 v4, v3
	v_mad_u64_u32 v[4:5], s[2:3], s15, v10, v[4:5]
	v_or_b32_e32 v7, 8, v10
	v_mov_b32_e32 v3, v4
	v_mad_u64_u32 v[4:5], s[4:5], s14, v7, 0
	v_mov_b32_e32 v6, v5
	v_cmp_le_u32_e64 s[2:3], s10, v7
	v_mad_u64_u32 v[6:7], s[4:5], s15, v7, v[6:7]
	v_or_b32_e32 v9, 16, v10
	v_mov_b32_e32 v5, v6
	v_mad_u64_u32 v[6:7], s[6:7], s14, v9, 0
	v_mov_b32_e32 v8, v7
	v_cmp_le_u32_e64 s[4:5], s10, v9
	v_mad_u64_u32 v[8:9], s[6:7], s15, v9, v[8:9]
	v_or_b32_e32 v11, 24, v10
	v_mov_b32_e32 v7, v8
	v_mad_u64_u32 v[8:9], s[8:9], s14, v11, 0
	v_cmp_le_u32_e64 s[0:1], s10, v10
	v_mov_b32_e32 v10, v9
	v_cmp_le_u32_e64 s[6:7], s10, v11
	v_mad_u64_u32 v[10:11], s[8:9], s15, v11, v[10:11]
	v_mov_b32_e32 v9, v10
	s_mov_b32 s10, 0
	s_branch .LBB18_3
.LBB18_2:                               ;   in Loop: Header=BB18_3 Depth=1
	s_or_b64 exec, exec, s[14:15]
	s_add_i32 s10, s10, 32
	s_cmp_lt_i32 s10, s11
	s_cbranch_scc0 .LBB18_20
.LBB18_3:                               ; =>This Inner Loop Header: Depth=1
	v_add_u32_e32 v10, s10, v12
	v_cmp_le_i32_e64 s[8:9], s11, v10
	v_ashrrev_i32_e32 v11, 31, v10
	v_lshl_add_u64 v[10:11], v[10:11], 3, s[12:13]
	s_nor_b64 s[16:17], s[8:9], s[0:1]
	s_barrier
	s_and_saveexec_b64 s[14:15], s[16:17]
	s_cbranch_execnz .LBB18_17
; %bb.4:                                ;   in Loop: Header=BB18_3 Depth=1
	s_or_b64 exec, exec, s[14:15]
	s_nor_b64 s[16:17], s[8:9], s[2:3]
	s_and_saveexec_b64 s[14:15], s[16:17]
	s_cbranch_execnz .LBB18_18
.LBB18_5:                               ;   in Loop: Header=BB18_3 Depth=1
	s_or_b64 exec, exec, s[14:15]
	s_nor_b64 s[16:17], s[8:9], s[4:5]
	s_and_saveexec_b64 s[14:15], s[16:17]
	s_cbranch_execnz .LBB18_19
.LBB18_6:                               ;   in Loop: Header=BB18_3 Depth=1
	s_or_b64 exec, exec, s[14:15]
	s_nor_b64 s[14:15], s[8:9], s[6:7]
	s_and_saveexec_b64 s[8:9], s[14:15]
	s_cbranch_execz .LBB18_8
.LBB18_7:                               ;   in Loop: Header=BB18_3 Depth=1
	v_lshl_add_u64 v[10:11], v[8:9], 3, v[10:11]
	global_load_dwordx2 v[10:11], v[10:11], off
	s_waitcnt vmcnt(0)
	ds_write_b64 v14, v[10:11] offset:6144
.LBB18_8:                               ;   in Loop: Header=BB18_3 Depth=1
	s_or_b64 exec, exec, s[8:9]
	v_add_u32_e32 v10, s10, v13
	v_cmp_gt_u32_e64 s[8:9], s11, v10
	s_and_b64 s[14:15], vcc, s[8:9]
	s_waitcnt lgkmcnt(0)
	s_barrier
	s_and_saveexec_b64 s[8:9], s[14:15]
	s_cbranch_execz .LBB18_10
; %bb.9:                                ;   in Loop: Header=BB18_3 Depth=1
	v_mad_u64_u32 v[16:17], s[14:15], s18, v10, 0
	ds_read_b64 v[20:21], v15
	v_mov_b32_e32 v18, v17
	v_mad_u64_u32 v[18:19], s[14:15], s19, v10, v[18:19]
	v_mov_b32_e32 v17, v18
	v_lshl_add_u64 v[16:17], v[16:17], 3, v[0:1]
	s_waitcnt lgkmcnt(0)
	global_store_dwordx2 v[16:17], v[20:21], off
.LBB18_10:                              ;   in Loop: Header=BB18_3 Depth=1
	s_or_b64 exec, exec, s[8:9]
	s_and_saveexec_b64 s[14:15], vcc
	s_cbranch_execz .LBB18_2
; %bb.11:                               ;   in Loop: Header=BB18_3 Depth=1
	v_add_u32_e32 v11, 8, v10
	v_cmp_gt_u32_e64 s[8:9], s11, v11
	s_and_saveexec_b64 s[16:17], s[8:9]
	s_cbranch_execz .LBB18_13
; %bb.12:                               ;   in Loop: Header=BB18_3 Depth=1
	v_mad_u64_u32 v[16:17], s[8:9], s18, v11, 0
	ds_read_b64 v[20:21], v15 offset:64
	v_mov_b32_e32 v18, v17
	v_mad_u64_u32 v[18:19], s[8:9], s19, v11, v[18:19]
	v_mov_b32_e32 v17, v18
	v_lshl_add_u64 v[16:17], v[16:17], 3, v[0:1]
	s_waitcnt lgkmcnt(0)
	global_store_dwordx2 v[16:17], v[20:21], off
.LBB18_13:                              ;   in Loop: Header=BB18_3 Depth=1
	s_or_b64 exec, exec, s[16:17]
	v_add_u32_e32 v11, 16, v10
	v_cmp_gt_u32_e64 s[8:9], s11, v11
	s_and_saveexec_b64 s[16:17], s[8:9]
	s_cbranch_execz .LBB18_15
; %bb.14:                               ;   in Loop: Header=BB18_3 Depth=1
	v_mad_u64_u32 v[16:17], s[8:9], s18, v11, 0
	ds_read_b64 v[20:21], v15 offset:128
	v_mov_b32_e32 v18, v17
	v_mad_u64_u32 v[18:19], s[8:9], s19, v11, v[18:19]
	v_mov_b32_e32 v17, v18
	v_lshl_add_u64 v[16:17], v[16:17], 3, v[0:1]
	s_waitcnt lgkmcnt(0)
	global_store_dwordx2 v[16:17], v[20:21], off
.LBB18_15:                              ;   in Loop: Header=BB18_3 Depth=1
	s_or_b64 exec, exec, s[16:17]
	v_add_u32_e32 v10, 24, v10
	v_cmp_gt_u32_e64 s[8:9], s11, v10
	s_and_b64 exec, exec, s[8:9]
	s_cbranch_execz .LBB18_2
; %bb.16:                               ;   in Loop: Header=BB18_3 Depth=1
	v_mad_u64_u32 v[16:17], s[8:9], s18, v10, 0
	ds_read_b64 v[20:21], v15 offset:192
	v_mov_b32_e32 v18, v17
	v_mad_u64_u32 v[10:11], s[8:9], s19, v10, v[18:19]
	v_mov_b32_e32 v17, v10
	v_lshl_add_u64 v[10:11], v[16:17], 3, v[0:1]
	s_waitcnt lgkmcnt(0)
	global_store_dwordx2 v[10:11], v[20:21], off
	s_branch .LBB18_2
.LBB18_17:                              ;   in Loop: Header=BB18_3 Depth=1
	v_lshl_add_u64 v[16:17], v[2:3], 3, v[10:11]
	global_load_dwordx2 v[16:17], v[16:17], off
	s_waitcnt vmcnt(0)
	ds_write_b64 v14, v[16:17]
	s_or_b64 exec, exec, s[14:15]
	s_nor_b64 s[16:17], s[8:9], s[2:3]
	s_and_saveexec_b64 s[14:15], s[16:17]
	s_cbranch_execz .LBB18_5
.LBB18_18:                              ;   in Loop: Header=BB18_3 Depth=1
	v_lshl_add_u64 v[16:17], v[4:5], 3, v[10:11]
	global_load_dwordx2 v[16:17], v[16:17], off
	s_waitcnt vmcnt(0)
	ds_write_b64 v14, v[16:17] offset:2048
	s_or_b64 exec, exec, s[14:15]
	s_nor_b64 s[16:17], s[8:9], s[4:5]
	s_and_saveexec_b64 s[14:15], s[16:17]
	s_cbranch_execz .LBB18_6
.LBB18_19:                              ;   in Loop: Header=BB18_3 Depth=1
	v_lshl_add_u64 v[16:17], v[6:7], 3, v[10:11]
	global_load_dwordx2 v[16:17], v[16:17], off
	s_waitcnt vmcnt(0)
	ds_write_b64 v14, v[16:17] offset:4096
	s_or_b64 exec, exec, s[14:15]
	s_nor_b64 s[14:15], s[8:9], s[6:7]
	s_and_saveexec_b64 s[8:9], s[14:15]
	s_cbranch_execnz .LBB18_7
	s_branch .LBB18_8
.LBB18_20:
	s_endpgm
	.section	.rodata,"a",@progbits
	.p2align	6, 0x0
	.amdhsa_kernel _ZN9rocsparseL27dense_transpose_back_kernelILj32ELj8Ei21rocsparse_complex_numIfEEEvT1_S3_PKT2_lPS4_l
		.amdhsa_group_segment_fixed_size 8192
		.amdhsa_private_segment_fixed_size 0
		.amdhsa_kernarg_size 40
		.amdhsa_user_sgpr_count 2
		.amdhsa_user_sgpr_dispatch_ptr 0
		.amdhsa_user_sgpr_queue_ptr 0
		.amdhsa_user_sgpr_kernarg_segment_ptr 1
		.amdhsa_user_sgpr_dispatch_id 0
		.amdhsa_user_sgpr_kernarg_preload_length 0
		.amdhsa_user_sgpr_kernarg_preload_offset 0
		.amdhsa_user_sgpr_private_segment_size 0
		.amdhsa_uses_dynamic_stack 0
		.amdhsa_enable_private_segment 0
		.amdhsa_system_sgpr_workgroup_id_x 1
		.amdhsa_system_sgpr_workgroup_id_y 0
		.amdhsa_system_sgpr_workgroup_id_z 0
		.amdhsa_system_sgpr_workgroup_info 0
		.amdhsa_system_vgpr_workitem_id 0
		.amdhsa_next_free_vgpr 22
		.amdhsa_next_free_sgpr 20
		.amdhsa_accum_offset 24
		.amdhsa_reserve_vcc 1
		.amdhsa_float_round_mode_32 0
		.amdhsa_float_round_mode_16_64 0
		.amdhsa_float_denorm_mode_32 3
		.amdhsa_float_denorm_mode_16_64 3
		.amdhsa_dx10_clamp 1
		.amdhsa_ieee_mode 1
		.amdhsa_fp16_overflow 0
		.amdhsa_tg_split 0
		.amdhsa_exception_fp_ieee_invalid_op 0
		.amdhsa_exception_fp_denorm_src 0
		.amdhsa_exception_fp_ieee_div_zero 0
		.amdhsa_exception_fp_ieee_overflow 0
		.amdhsa_exception_fp_ieee_underflow 0
		.amdhsa_exception_fp_ieee_inexact 0
		.amdhsa_exception_int_div_zero 0
	.end_amdhsa_kernel
	.section	.text._ZN9rocsparseL27dense_transpose_back_kernelILj32ELj8Ei21rocsparse_complex_numIfEEEvT1_S3_PKT2_lPS4_l,"axG",@progbits,_ZN9rocsparseL27dense_transpose_back_kernelILj32ELj8Ei21rocsparse_complex_numIfEEEvT1_S3_PKT2_lPS4_l,comdat
.Lfunc_end18:
	.size	_ZN9rocsparseL27dense_transpose_back_kernelILj32ELj8Ei21rocsparse_complex_numIfEEEvT1_S3_PKT2_lPS4_l, .Lfunc_end18-_ZN9rocsparseL27dense_transpose_back_kernelILj32ELj8Ei21rocsparse_complex_numIfEEEvT1_S3_PKT2_lPS4_l
                                        ; -- End function
	.set _ZN9rocsparseL27dense_transpose_back_kernelILj32ELj8Ei21rocsparse_complex_numIfEEEvT1_S3_PKT2_lPS4_l.num_vgpr, 22
	.set _ZN9rocsparseL27dense_transpose_back_kernelILj32ELj8Ei21rocsparse_complex_numIfEEEvT1_S3_PKT2_lPS4_l.num_agpr, 0
	.set _ZN9rocsparseL27dense_transpose_back_kernelILj32ELj8Ei21rocsparse_complex_numIfEEEvT1_S3_PKT2_lPS4_l.numbered_sgpr, 20
	.set _ZN9rocsparseL27dense_transpose_back_kernelILj32ELj8Ei21rocsparse_complex_numIfEEEvT1_S3_PKT2_lPS4_l.num_named_barrier, 0
	.set _ZN9rocsparseL27dense_transpose_back_kernelILj32ELj8Ei21rocsparse_complex_numIfEEEvT1_S3_PKT2_lPS4_l.private_seg_size, 0
	.set _ZN9rocsparseL27dense_transpose_back_kernelILj32ELj8Ei21rocsparse_complex_numIfEEEvT1_S3_PKT2_lPS4_l.uses_vcc, 1
	.set _ZN9rocsparseL27dense_transpose_back_kernelILj32ELj8Ei21rocsparse_complex_numIfEEEvT1_S3_PKT2_lPS4_l.uses_flat_scratch, 0
	.set _ZN9rocsparseL27dense_transpose_back_kernelILj32ELj8Ei21rocsparse_complex_numIfEEEvT1_S3_PKT2_lPS4_l.has_dyn_sized_stack, 0
	.set _ZN9rocsparseL27dense_transpose_back_kernelILj32ELj8Ei21rocsparse_complex_numIfEEEvT1_S3_PKT2_lPS4_l.has_recursion, 0
	.set _ZN9rocsparseL27dense_transpose_back_kernelILj32ELj8Ei21rocsparse_complex_numIfEEEvT1_S3_PKT2_lPS4_l.has_indirect_call, 0
	.section	.AMDGPU.csdata,"",@progbits
; Kernel info:
; codeLenInByte = 848
; TotalNumSgprs: 26
; NumVgprs: 22
; NumAgprs: 0
; TotalNumVgprs: 22
; ScratchSize: 0
; MemoryBound: 0
; FloatMode: 240
; IeeeMode: 1
; LDSByteSize: 8192 bytes/workgroup (compile time only)
; SGPRBlocks: 3
; VGPRBlocks: 2
; NumSGPRsForWavesPerEU: 26
; NumVGPRsForWavesPerEU: 22
; AccumOffset: 24
; Occupancy: 8
; WaveLimiterHint : 0
; COMPUTE_PGM_RSRC2:SCRATCH_EN: 0
; COMPUTE_PGM_RSRC2:USER_SGPR: 2
; COMPUTE_PGM_RSRC2:TRAP_HANDLER: 0
; COMPUTE_PGM_RSRC2:TGID_X_EN: 1
; COMPUTE_PGM_RSRC2:TGID_Y_EN: 0
; COMPUTE_PGM_RSRC2:TGID_Z_EN: 0
; COMPUTE_PGM_RSRC2:TIDIG_COMP_CNT: 0
; COMPUTE_PGM_RSRC3_GFX90A:ACCUM_OFFSET: 5
; COMPUTE_PGM_RSRC3_GFX90A:TG_SPLIT: 0
	.section	.text._ZN9rocsparseL27dense_transpose_back_kernelILj32ELj8Ei21rocsparse_complex_numIdEEEvT1_S3_PKT2_lPS4_l,"axG",@progbits,_ZN9rocsparseL27dense_transpose_back_kernelILj32ELj8Ei21rocsparse_complex_numIdEEEvT1_S3_PKT2_lPS4_l,comdat
	.globl	_ZN9rocsparseL27dense_transpose_back_kernelILj32ELj8Ei21rocsparse_complex_numIdEEEvT1_S3_PKT2_lPS4_l ; -- Begin function _ZN9rocsparseL27dense_transpose_back_kernelILj32ELj8Ei21rocsparse_complex_numIdEEEvT1_S3_PKT2_lPS4_l
	.p2align	8
	.type	_ZN9rocsparseL27dense_transpose_back_kernelILj32ELj8Ei21rocsparse_complex_numIdEEEvT1_S3_PKT2_lPS4_l,@function
_ZN9rocsparseL27dense_transpose_back_kernelILj32ELj8Ei21rocsparse_complex_numIdEEEvT1_S3_PKT2_lPS4_l: ; @_ZN9rocsparseL27dense_transpose_back_kernelILj32ELj8Ei21rocsparse_complex_numIdEEEvT1_S3_PKT2_lPS4_l
; %bb.0:
	s_load_dwordx2 s[10:11], s[0:1], 0x0
	s_waitcnt lgkmcnt(0)
	s_cmp_lt_i32 s11, 1
	s_cbranch_scc1 .LBB19_20
; %bb.1:
	s_load_dwordx8 s[12:19], s[0:1], 0x8
	v_and_b32_e32 v12, 31, v0
	v_lshrrev_b32_e32 v13, 5, v0
	s_lshl_b32 s0, s2, 5
	v_lshlrev_b32_e32 v3, 4, v12
	v_or_b32_e32 v2, s0, v12
	v_lshl_or_b32 v14, v13, 9, v3
	v_lshlrev_b32_e32 v3, 4, v13
	s_waitcnt lgkmcnt(0)
	v_mov_b32_e32 v0, s16
	v_mov_b32_e32 v1, s17
	v_or_b32_e32 v10, s0, v13
	v_lshl_or_b32 v15, v12, 9, v3
	v_ashrrev_i32_e32 v3, 31, v2
	v_cmp_gt_i32_e32 vcc, s10, v2
	v_lshl_add_u64 v[0:1], v[2:3], 4, v[0:1]
	v_mad_u64_u32 v[2:3], s[2:3], s14, v10, 0
	v_mov_b32_e32 v4, v3
	v_mad_u64_u32 v[4:5], s[2:3], s15, v10, v[4:5]
	v_or_b32_e32 v7, 8, v10
	v_mov_b32_e32 v3, v4
	v_mad_u64_u32 v[4:5], s[4:5], s14, v7, 0
	v_mov_b32_e32 v6, v5
	v_cmp_le_u32_e64 s[2:3], s10, v7
	v_mad_u64_u32 v[6:7], s[4:5], s15, v7, v[6:7]
	v_or_b32_e32 v9, 16, v10
	v_mov_b32_e32 v5, v6
	v_mad_u64_u32 v[6:7], s[6:7], s14, v9, 0
	v_mov_b32_e32 v8, v7
	v_cmp_le_u32_e64 s[4:5], s10, v9
	v_mad_u64_u32 v[8:9], s[6:7], s15, v9, v[8:9]
	v_or_b32_e32 v11, 24, v10
	v_mov_b32_e32 v7, v8
	v_mad_u64_u32 v[8:9], s[8:9], s14, v11, 0
	v_cmp_le_u32_e64 s[0:1], s10, v10
	v_mov_b32_e32 v10, v9
	v_cmp_le_u32_e64 s[6:7], s10, v11
	v_mad_u64_u32 v[10:11], s[8:9], s15, v11, v[10:11]
	v_or_b32_e32 v16, 0x1000, v14
	v_or_b32_e32 v17, 0x2000, v14
	v_mov_b32_e32 v9, v10
	v_or_b32_e32 v18, 0x3000, v14
	v_or_b32_e32 v19, 0x80, v15
	;; [unrolled: 1-line block ×4, first 2 shown]
	s_mov_b32 s10, 0
	s_branch .LBB19_3
.LBB19_2:                               ;   in Loop: Header=BB19_3 Depth=1
	s_or_b64 exec, exec, s[14:15]
	s_add_i32 s10, s10, 32
	s_cmp_lt_i32 s10, s11
	s_cbranch_scc0 .LBB19_20
.LBB19_3:                               ; =>This Inner Loop Header: Depth=1
	v_add_u32_e32 v10, s10, v12
	v_cmp_le_i32_e64 s[8:9], s11, v10
	v_ashrrev_i32_e32 v11, 31, v10
	v_lshl_add_u64 v[10:11], v[10:11], 4, s[12:13]
	s_nor_b64 s[16:17], s[8:9], s[0:1]
	s_barrier
	s_and_saveexec_b64 s[14:15], s[16:17]
	s_cbranch_execnz .LBB19_17
; %bb.4:                                ;   in Loop: Header=BB19_3 Depth=1
	s_or_b64 exec, exec, s[14:15]
	s_nor_b64 s[16:17], s[8:9], s[2:3]
	s_and_saveexec_b64 s[14:15], s[16:17]
	s_cbranch_execnz .LBB19_18
.LBB19_5:                               ;   in Loop: Header=BB19_3 Depth=1
	s_or_b64 exec, exec, s[14:15]
	s_nor_b64 s[16:17], s[8:9], s[4:5]
	s_and_saveexec_b64 s[14:15], s[16:17]
	s_cbranch_execnz .LBB19_19
.LBB19_6:                               ;   in Loop: Header=BB19_3 Depth=1
	s_or_b64 exec, exec, s[14:15]
	s_nor_b64 s[14:15], s[8:9], s[6:7]
	s_and_saveexec_b64 s[8:9], s[14:15]
	s_cbranch_execz .LBB19_8
.LBB19_7:                               ;   in Loop: Header=BB19_3 Depth=1
	v_lshl_add_u64 v[10:11], v[8:9], 4, v[10:11]
	global_load_dwordx4 v[22:25], v[10:11], off
	s_waitcnt vmcnt(0)
	ds_write2_b64 v18, v[22:23], v[24:25] offset1:1
.LBB19_8:                               ;   in Loop: Header=BB19_3 Depth=1
	s_or_b64 exec, exec, s[8:9]
	v_add_u32_e32 v10, s10, v13
	v_cmp_gt_u32_e64 s[8:9], s11, v10
	s_and_b64 s[14:15], vcc, s[8:9]
	s_waitcnt lgkmcnt(0)
	s_barrier
	s_and_saveexec_b64 s[8:9], s[14:15]
	s_cbranch_execz .LBB19_10
; %bb.9:                                ;   in Loop: Header=BB19_3 Depth=1
	v_mad_u64_u32 v[26:27], s[14:15], s18, v10, 0
	ds_read2_b64 v[22:25], v15 offset1:1
	v_mov_b32_e32 v28, v27
	v_mad_u64_u32 v[28:29], s[14:15], s19, v10, v[28:29]
	v_mov_b32_e32 v27, v28
	v_lshl_add_u64 v[26:27], v[26:27], 4, v[0:1]
	s_waitcnt lgkmcnt(0)
	global_store_dwordx4 v[26:27], v[22:25], off
.LBB19_10:                              ;   in Loop: Header=BB19_3 Depth=1
	s_or_b64 exec, exec, s[8:9]
	s_and_saveexec_b64 s[14:15], vcc
	s_cbranch_execz .LBB19_2
; %bb.11:                               ;   in Loop: Header=BB19_3 Depth=1
	v_add_u32_e32 v11, 8, v10
	v_cmp_gt_u32_e64 s[8:9], s11, v11
	s_and_saveexec_b64 s[16:17], s[8:9]
	s_cbranch_execz .LBB19_13
; %bb.12:                               ;   in Loop: Header=BB19_3 Depth=1
	v_mad_u64_u32 v[26:27], s[8:9], s18, v11, 0
	ds_read2_b64 v[22:25], v19 offset1:1
	v_mov_b32_e32 v28, v27
	v_mad_u64_u32 v[28:29], s[8:9], s19, v11, v[28:29]
	v_mov_b32_e32 v27, v28
	v_lshl_add_u64 v[26:27], v[26:27], 4, v[0:1]
	s_waitcnt lgkmcnt(0)
	global_store_dwordx4 v[26:27], v[22:25], off
.LBB19_13:                              ;   in Loop: Header=BB19_3 Depth=1
	s_or_b64 exec, exec, s[16:17]
	v_add_u32_e32 v11, 16, v10
	v_cmp_gt_u32_e64 s[8:9], s11, v11
	s_and_saveexec_b64 s[16:17], s[8:9]
	s_cbranch_execz .LBB19_15
; %bb.14:                               ;   in Loop: Header=BB19_3 Depth=1
	v_mad_u64_u32 v[26:27], s[8:9], s18, v11, 0
	ds_read2_b64 v[22:25], v20 offset1:1
	v_mov_b32_e32 v28, v27
	v_mad_u64_u32 v[28:29], s[8:9], s19, v11, v[28:29]
	v_mov_b32_e32 v27, v28
	v_lshl_add_u64 v[26:27], v[26:27], 4, v[0:1]
	s_waitcnt lgkmcnt(0)
	global_store_dwordx4 v[26:27], v[22:25], off
.LBB19_15:                              ;   in Loop: Header=BB19_3 Depth=1
	s_or_b64 exec, exec, s[16:17]
	v_add_u32_e32 v10, 24, v10
	v_cmp_gt_u32_e64 s[8:9], s11, v10
	s_and_b64 exec, exec, s[8:9]
	s_cbranch_execz .LBB19_2
; %bb.16:                               ;   in Loop: Header=BB19_3 Depth=1
	v_mad_u64_u32 v[26:27], s[8:9], s18, v10, 0
	ds_read2_b64 v[22:25], v21 offset1:1
	v_mov_b32_e32 v28, v27
	v_mad_u64_u32 v[10:11], s[8:9], s19, v10, v[28:29]
	v_mov_b32_e32 v27, v10
	v_lshl_add_u64 v[10:11], v[26:27], 4, v[0:1]
	s_waitcnt lgkmcnt(0)
	global_store_dwordx4 v[10:11], v[22:25], off
	s_branch .LBB19_2
.LBB19_17:                              ;   in Loop: Header=BB19_3 Depth=1
	v_lshl_add_u64 v[22:23], v[2:3], 4, v[10:11]
	global_load_dwordx4 v[22:25], v[22:23], off
	s_waitcnt vmcnt(0)
	ds_write2_b64 v14, v[22:23], v[24:25] offset1:1
	s_or_b64 exec, exec, s[14:15]
	s_nor_b64 s[16:17], s[8:9], s[2:3]
	s_and_saveexec_b64 s[14:15], s[16:17]
	s_cbranch_execz .LBB19_5
.LBB19_18:                              ;   in Loop: Header=BB19_3 Depth=1
	v_lshl_add_u64 v[22:23], v[4:5], 4, v[10:11]
	global_load_dwordx4 v[22:25], v[22:23], off
	s_waitcnt vmcnt(0)
	ds_write2_b64 v16, v[22:23], v[24:25] offset1:1
	s_or_b64 exec, exec, s[14:15]
	s_nor_b64 s[16:17], s[8:9], s[4:5]
	s_and_saveexec_b64 s[14:15], s[16:17]
	s_cbranch_execz .LBB19_6
.LBB19_19:                              ;   in Loop: Header=BB19_3 Depth=1
	v_lshl_add_u64 v[22:23], v[6:7], 4, v[10:11]
	global_load_dwordx4 v[22:25], v[22:23], off
	s_waitcnt vmcnt(0)
	ds_write2_b64 v17, v[22:23], v[24:25] offset1:1
	s_or_b64 exec, exec, s[14:15]
	s_nor_b64 s[14:15], s[8:9], s[6:7]
	s_and_saveexec_b64 s[8:9], s[14:15]
	s_cbranch_execnz .LBB19_7
	s_branch .LBB19_8
.LBB19_20:
	s_endpgm
	.section	.rodata,"a",@progbits
	.p2align	6, 0x0
	.amdhsa_kernel _ZN9rocsparseL27dense_transpose_back_kernelILj32ELj8Ei21rocsparse_complex_numIdEEEvT1_S3_PKT2_lPS4_l
		.amdhsa_group_segment_fixed_size 16384
		.amdhsa_private_segment_fixed_size 0
		.amdhsa_kernarg_size 40
		.amdhsa_user_sgpr_count 2
		.amdhsa_user_sgpr_dispatch_ptr 0
		.amdhsa_user_sgpr_queue_ptr 0
		.amdhsa_user_sgpr_kernarg_segment_ptr 1
		.amdhsa_user_sgpr_dispatch_id 0
		.amdhsa_user_sgpr_kernarg_preload_length 0
		.amdhsa_user_sgpr_kernarg_preload_offset 0
		.amdhsa_user_sgpr_private_segment_size 0
		.amdhsa_uses_dynamic_stack 0
		.amdhsa_enable_private_segment 0
		.amdhsa_system_sgpr_workgroup_id_x 1
		.amdhsa_system_sgpr_workgroup_id_y 0
		.amdhsa_system_sgpr_workgroup_id_z 0
		.amdhsa_system_sgpr_workgroup_info 0
		.amdhsa_system_vgpr_workitem_id 0
		.amdhsa_next_free_vgpr 30
		.amdhsa_next_free_sgpr 20
		.amdhsa_accum_offset 32
		.amdhsa_reserve_vcc 1
		.amdhsa_float_round_mode_32 0
		.amdhsa_float_round_mode_16_64 0
		.amdhsa_float_denorm_mode_32 3
		.amdhsa_float_denorm_mode_16_64 3
		.amdhsa_dx10_clamp 1
		.amdhsa_ieee_mode 1
		.amdhsa_fp16_overflow 0
		.amdhsa_tg_split 0
		.amdhsa_exception_fp_ieee_invalid_op 0
		.amdhsa_exception_fp_denorm_src 0
		.amdhsa_exception_fp_ieee_div_zero 0
		.amdhsa_exception_fp_ieee_overflow 0
		.amdhsa_exception_fp_ieee_underflow 0
		.amdhsa_exception_fp_ieee_inexact 0
		.amdhsa_exception_int_div_zero 0
	.end_amdhsa_kernel
	.section	.text._ZN9rocsparseL27dense_transpose_back_kernelILj32ELj8Ei21rocsparse_complex_numIdEEEvT1_S3_PKT2_lPS4_l,"axG",@progbits,_ZN9rocsparseL27dense_transpose_back_kernelILj32ELj8Ei21rocsparse_complex_numIdEEEvT1_S3_PKT2_lPS4_l,comdat
.Lfunc_end19:
	.size	_ZN9rocsparseL27dense_transpose_back_kernelILj32ELj8Ei21rocsparse_complex_numIdEEEvT1_S3_PKT2_lPS4_l, .Lfunc_end19-_ZN9rocsparseL27dense_transpose_back_kernelILj32ELj8Ei21rocsparse_complex_numIdEEEvT1_S3_PKT2_lPS4_l
                                        ; -- End function
	.set _ZN9rocsparseL27dense_transpose_back_kernelILj32ELj8Ei21rocsparse_complex_numIdEEEvT1_S3_PKT2_lPS4_l.num_vgpr, 30
	.set _ZN9rocsparseL27dense_transpose_back_kernelILj32ELj8Ei21rocsparse_complex_numIdEEEvT1_S3_PKT2_lPS4_l.num_agpr, 0
	.set _ZN9rocsparseL27dense_transpose_back_kernelILj32ELj8Ei21rocsparse_complex_numIdEEEvT1_S3_PKT2_lPS4_l.numbered_sgpr, 20
	.set _ZN9rocsparseL27dense_transpose_back_kernelILj32ELj8Ei21rocsparse_complex_numIdEEEvT1_S3_PKT2_lPS4_l.num_named_barrier, 0
	.set _ZN9rocsparseL27dense_transpose_back_kernelILj32ELj8Ei21rocsparse_complex_numIdEEEvT1_S3_PKT2_lPS4_l.private_seg_size, 0
	.set _ZN9rocsparseL27dense_transpose_back_kernelILj32ELj8Ei21rocsparse_complex_numIdEEEvT1_S3_PKT2_lPS4_l.uses_vcc, 1
	.set _ZN9rocsparseL27dense_transpose_back_kernelILj32ELj8Ei21rocsparse_complex_numIdEEEvT1_S3_PKT2_lPS4_l.uses_flat_scratch, 0
	.set _ZN9rocsparseL27dense_transpose_back_kernelILj32ELj8Ei21rocsparse_complex_numIdEEEvT1_S3_PKT2_lPS4_l.has_dyn_sized_stack, 0
	.set _ZN9rocsparseL27dense_transpose_back_kernelILj32ELj8Ei21rocsparse_complex_numIdEEEvT1_S3_PKT2_lPS4_l.has_recursion, 0
	.set _ZN9rocsparseL27dense_transpose_back_kernelILj32ELj8Ei21rocsparse_complex_numIdEEEvT1_S3_PKT2_lPS4_l.has_indirect_call, 0
	.section	.AMDGPU.csdata,"",@progbits
; Kernel info:
; codeLenInByte = 896
; TotalNumSgprs: 26
; NumVgprs: 30
; NumAgprs: 0
; TotalNumVgprs: 30
; ScratchSize: 0
; MemoryBound: 0
; FloatMode: 240
; IeeeMode: 1
; LDSByteSize: 16384 bytes/workgroup (compile time only)
; SGPRBlocks: 3
; VGPRBlocks: 3
; NumSGPRsForWavesPerEU: 26
; NumVGPRsForWavesPerEU: 30
; AccumOffset: 32
; Occupancy: 8
; WaveLimiterHint : 0
; COMPUTE_PGM_RSRC2:SCRATCH_EN: 0
; COMPUTE_PGM_RSRC2:USER_SGPR: 2
; COMPUTE_PGM_RSRC2:TRAP_HANDLER: 0
; COMPUTE_PGM_RSRC2:TGID_X_EN: 1
; COMPUTE_PGM_RSRC2:TGID_Y_EN: 0
; COMPUTE_PGM_RSRC2:TGID_Z_EN: 0
; COMPUTE_PGM_RSRC2:TIDIG_COMP_CNT: 0
; COMPUTE_PGM_RSRC3_GFX90A:ACCUM_OFFSET: 7
; COMPUTE_PGM_RSRC3_GFX90A:TG_SPLIT: 0
	.section	.text._ZN9rocsparseL27dense_transpose_back_kernelILj32ELj8ElfEEvT1_S1_PKT2_lPS2_l,"axG",@progbits,_ZN9rocsparseL27dense_transpose_back_kernelILj32ELj8ElfEEvT1_S1_PKT2_lPS2_l,comdat
	.globl	_ZN9rocsparseL27dense_transpose_back_kernelILj32ELj8ElfEEvT1_S1_PKT2_lPS2_l ; -- Begin function _ZN9rocsparseL27dense_transpose_back_kernelILj32ELj8ElfEEvT1_S1_PKT2_lPS2_l
	.p2align	8
	.type	_ZN9rocsparseL27dense_transpose_back_kernelILj32ELj8ElfEEvT1_S1_PKT2_lPS2_l,@function
_ZN9rocsparseL27dense_transpose_back_kernelILj32ELj8ElfEEvT1_S1_PKT2_lPS2_l: ; @_ZN9rocsparseL27dense_transpose_back_kernelILj32ELj8ElfEEvT1_S1_PKT2_lPS2_l
; %bb.0:
	s_load_dwordx8 s[8:15], s[0:1], 0x0
	s_waitcnt lgkmcnt(0)
	v_cmp_lt_i64_e64 s[4:5], s[10:11], 1
	s_and_b64 vcc, exec, s[4:5]
	s_cbranch_vccnz .LBB20_20
; %bb.1:
	s_load_dwordx4 s[16:19], s[0:1], 0x20
	v_lshrrev_b32_e32 v2, 5, v0
	v_and_b32_e32 v0, 31, v0
	v_lshlrev_b32_e32 v6, 2, v2
	v_lshl_or_b32 v25, v0, 7, v6
	s_waitcnt lgkmcnt(0)
	v_mad_u64_u32 v[6:7], s[20:21], s18, v2, 0
	v_mov_b32_e32 v8, v7
	v_mad_u64_u32 v[8:9], s[20:21], s19, v2, v[8:9]
	v_or_b32_e32 v11, 24, v2
	v_mov_b32_e32 v7, v8
	v_mad_u64_u32 v[8:9], s[22:23], s18, v11, 0
	v_mov_b32_e32 v10, v9
	s_lshl_b32 s0, s2, 5
	v_mad_u64_u32 v[10:11], s[22:23], s19, v11, v[10:11]
	v_or_b32_e32 v13, 16, v2
	v_or_b32_e32 v14, s0, v2
	v_mov_b32_e32 v15, 0
	v_mov_b32_e32 v9, v10
	v_mad_u64_u32 v[10:11], s[22:23], s18, v13, 0
	v_or_b32_e32 v16, 8, v14
	v_mov_b32_e32 v17, v15
	v_mov_b32_e32 v12, v11
	v_cmp_le_i64_e64 s[4:5], s[8:9], v[16:17]
	v_mad_u64_u32 v[12:13], s[22:23], s19, v13, v[12:13]
	v_or_b32_e32 v17, 8, v2
	v_mov_b32_e32 v11, v12
	v_mad_u64_u32 v[12:13], s[22:23], s18, v17, 0
	v_mov_b32_e32 v26, v13
	s_lshl_b64 s[20:21], s[18:19], 7
	v_mad_u64_u32 v[26:27], s[18:19], s19, v17, v[26:27]
	v_mov_b32_e32 v13, v26
	v_lshl_add_u64 v[6:7], v[6:7], 2, s[16:17]
	v_lshl_add_u64 v[8:9], v[8:9], 2, s[16:17]
	;; [unrolled: 1-line block ×4, first 2 shown]
	v_mad_u64_u32 v[26:27], s[16:17], s14, v14, 0
	v_mov_b32_e32 v28, v27
	v_mad_u64_u32 v[28:29], s[16:17], s15, v14, v[28:29]
	v_lshlrev_b32_e32 v20, 2, v0
	v_mov_b32_e32 v27, v28
	v_mov_b32_e32 v21, v15
	;; [unrolled: 1-line block ×5, first 2 shown]
	v_cmp_le_i64_e64 s[2:3], s[8:9], v[14:15]
	v_or_b32_e32 v18, 16, v14
	v_mov_b32_e32 v19, v15
	v_or_b32_e32 v22, 24, v14
	v_mov_b32_e32 v23, v15
	v_lshl_add_u64 v[14:15], v[26:27], 2, v[20:21]
	v_mad_u64_u32 v[26:27], s[16:17], s14, v16, 0
	v_mov_b32_e32 v28, v27
	v_mad_u64_u32 v[16:17], s[16:17], s15, v16, v[28:29]
	v_mov_b32_e32 v27, v16
	v_lshl_add_u64 v[16:17], v[26:27], 2, v[20:21]
	v_mad_u64_u32 v[26:27], s[16:17], s14, v18, 0
	v_mov_b32_e32 v28, v27
	v_cmp_le_i64_e64 s[6:7], s[8:9], v[18:19]
	v_mad_u64_u32 v[18:19], s[16:17], s15, v18, v[28:29]
	v_mov_b32_e32 v27, v18
	v_lshl_add_u64 v[18:19], v[26:27], 2, v[20:21]
	v_mad_u64_u32 v[26:27], s[16:17], s14, v22, 0
	v_or_b32_e32 v4, s0, v0
	v_mov_b32_e32 v28, v27
	v_cmp_gt_i64_e64 s[0:1], s[8:9], v[4:5]
	v_cmp_le_i64_e64 s[8:9], s[8:9], v[22:23]
	v_mad_u64_u32 v[22:23], s[14:15], s15, v22, v[28:29]
	v_mov_b32_e32 v27, v22
	v_lshl_or_b32 v24, v2, 7, v20
	v_lshl_add_u64 v[20:21], v[26:27], 2, v[20:21]
	v_lshlrev_b64 v[4:5], 2, v[4:5]
	v_lshl_add_u64 v[14:15], s[12:13], 0, v[14:15]
	v_lshl_add_u64 v[16:17], s[12:13], 0, v[16:17]
	;; [unrolled: 1-line block ×4, first 2 shown]
	s_mov_b64 s[12:13], 0
	s_mov_b64 s[14:15], 0x80
	s_branch .LBB20_3
.LBB20_2:                               ;   in Loop: Header=BB20_3 Depth=1
	s_or_b64 exec, exec, s[16:17]
	s_add_u32 s12, s12, 32
	s_addc_u32 s13, s13, 0
	v_mov_b64_e32 v[22:23], s[10:11]
	v_cmp_lt_i64_e32 vcc, s[12:13], v[22:23]
	v_lshl_add_u64 v[6:7], v[6:7], 0, s[20:21]
	v_lshl_add_u64 v[8:9], v[8:9], 0, s[20:21]
	;; [unrolled: 1-line block ×8, first 2 shown]
	s_cbranch_vccz .LBB20_20
.LBB20_3:                               ; =>This Inner Loop Header: Depth=1
	v_lshl_add_u64 v[22:23], v[0:1], 0, s[12:13]
	v_cmp_le_i64_e32 vcc, s[10:11], v[22:23]
	s_nor_b64 s[18:19], vcc, s[2:3]
	s_barrier
	s_and_saveexec_b64 s[16:17], s[18:19]
	s_cbranch_execnz .LBB20_17
; %bb.4:                                ;   in Loop: Header=BB20_3 Depth=1
	s_or_b64 exec, exec, s[16:17]
	s_nor_b64 s[18:19], vcc, s[4:5]
	s_and_saveexec_b64 s[16:17], s[18:19]
	s_cbranch_execnz .LBB20_18
.LBB20_5:                               ;   in Loop: Header=BB20_3 Depth=1
	s_or_b64 exec, exec, s[16:17]
	s_nor_b64 s[18:19], vcc, s[6:7]
	s_and_saveexec_b64 s[16:17], s[18:19]
	s_cbranch_execnz .LBB20_19
.LBB20_6:                               ;   in Loop: Header=BB20_3 Depth=1
	s_or_b64 exec, exec, s[16:17]
	s_nor_b64 s[18:19], vcc, s[8:9]
	s_and_saveexec_b64 s[16:17], s[18:19]
	s_cbranch_execz .LBB20_8
.LBB20_7:                               ;   in Loop: Header=BB20_3 Depth=1
	global_load_dword v22, v[20:21], off
	s_waitcnt vmcnt(0)
	ds_write_b32 v24, v22 offset:3072
.LBB20_8:                               ;   in Loop: Header=BB20_3 Depth=1
	s_or_b64 exec, exec, s[16:17]
	v_lshl_add_u64 v[22:23], v[2:3], 0, s[12:13]
	v_cmp_gt_i64_e32 vcc, s[10:11], v[22:23]
	s_and_b64 s[18:19], s[0:1], vcc
	s_waitcnt lgkmcnt(0)
	s_barrier
	s_and_saveexec_b64 s[16:17], s[18:19]
	s_cbranch_execz .LBB20_10
; %bb.9:                                ;   in Loop: Header=BB20_3 Depth=1
	ds_read_b32 v28, v25
	v_lshl_add_u64 v[26:27], v[6:7], 0, v[4:5]
	s_waitcnt lgkmcnt(0)
	global_store_dword v[26:27], v28, off
.LBB20_10:                              ;   in Loop: Header=BB20_3 Depth=1
	s_or_b64 exec, exec, s[16:17]
	s_and_saveexec_b64 s[16:17], s[0:1]
	s_cbranch_execz .LBB20_2
; %bb.11:                               ;   in Loop: Header=BB20_3 Depth=1
	v_lshl_add_u64 v[26:27], v[22:23], 0, 8
	v_cmp_gt_i64_e32 vcc, s[10:11], v[26:27]
	s_and_saveexec_b64 s[18:19], vcc
	s_cbranch_execz .LBB20_13
; %bb.12:                               ;   in Loop: Header=BB20_3 Depth=1
	ds_read_b32 v28, v25 offset:32
	v_lshl_add_u64 v[26:27], v[12:13], 0, v[4:5]
	s_waitcnt lgkmcnt(0)
	global_store_dword v[26:27], v28, off
.LBB20_13:                              ;   in Loop: Header=BB20_3 Depth=1
	s_or_b64 exec, exec, s[18:19]
	v_lshl_add_u64 v[26:27], v[22:23], 0, 16
	v_cmp_gt_i64_e32 vcc, s[10:11], v[26:27]
	s_and_saveexec_b64 s[18:19], vcc
	s_cbranch_execz .LBB20_15
; %bb.14:                               ;   in Loop: Header=BB20_3 Depth=1
	ds_read_b32 v28, v25 offset:64
	v_lshl_add_u64 v[26:27], v[10:11], 0, v[4:5]
	s_waitcnt lgkmcnt(0)
	global_store_dword v[26:27], v28, off
.LBB20_15:                              ;   in Loop: Header=BB20_3 Depth=1
	s_or_b64 exec, exec, s[18:19]
	v_lshl_add_u64 v[22:23], v[22:23], 0, 24
	v_cmp_gt_i64_e32 vcc, s[10:11], v[22:23]
	s_and_b64 exec, exec, vcc
	s_cbranch_execz .LBB20_2
; %bb.16:                               ;   in Loop: Header=BB20_3 Depth=1
	ds_read_b32 v26, v25 offset:96
	v_lshl_add_u64 v[22:23], v[8:9], 0, v[4:5]
	s_waitcnt lgkmcnt(0)
	global_store_dword v[22:23], v26, off
	s_branch .LBB20_2
.LBB20_17:                              ;   in Loop: Header=BB20_3 Depth=1
	global_load_dword v22, v[14:15], off
	s_waitcnt vmcnt(0)
	ds_write_b32 v24, v22
	s_or_b64 exec, exec, s[16:17]
	s_nor_b64 s[18:19], vcc, s[4:5]
	s_and_saveexec_b64 s[16:17], s[18:19]
	s_cbranch_execz .LBB20_5
.LBB20_18:                              ;   in Loop: Header=BB20_3 Depth=1
	global_load_dword v22, v[16:17], off
	s_waitcnt vmcnt(0)
	ds_write_b32 v24, v22 offset:1024
	s_or_b64 exec, exec, s[16:17]
	s_nor_b64 s[18:19], vcc, s[6:7]
	s_and_saveexec_b64 s[16:17], s[18:19]
	s_cbranch_execz .LBB20_6
.LBB20_19:                              ;   in Loop: Header=BB20_3 Depth=1
	global_load_dword v22, v[18:19], off
	s_waitcnt vmcnt(0)
	ds_write_b32 v24, v22 offset:2048
	s_or_b64 exec, exec, s[16:17]
	s_nor_b64 s[18:19], vcc, s[8:9]
	s_and_saveexec_b64 s[16:17], s[18:19]
	s_cbranch_execnz .LBB20_7
	s_branch .LBB20_8
.LBB20_20:
	s_endpgm
	.section	.rodata,"a",@progbits
	.p2align	6, 0x0
	.amdhsa_kernel _ZN9rocsparseL27dense_transpose_back_kernelILj32ELj8ElfEEvT1_S1_PKT2_lPS2_l
		.amdhsa_group_segment_fixed_size 4096
		.amdhsa_private_segment_fixed_size 0
		.amdhsa_kernarg_size 48
		.amdhsa_user_sgpr_count 2
		.amdhsa_user_sgpr_dispatch_ptr 0
		.amdhsa_user_sgpr_queue_ptr 0
		.amdhsa_user_sgpr_kernarg_segment_ptr 1
		.amdhsa_user_sgpr_dispatch_id 0
		.amdhsa_user_sgpr_kernarg_preload_length 0
		.amdhsa_user_sgpr_kernarg_preload_offset 0
		.amdhsa_user_sgpr_private_segment_size 0
		.amdhsa_uses_dynamic_stack 0
		.amdhsa_enable_private_segment 0
		.amdhsa_system_sgpr_workgroup_id_x 1
		.amdhsa_system_sgpr_workgroup_id_y 0
		.amdhsa_system_sgpr_workgroup_id_z 0
		.amdhsa_system_sgpr_workgroup_info 0
		.amdhsa_system_vgpr_workitem_id 0
		.amdhsa_next_free_vgpr 30
		.amdhsa_next_free_sgpr 24
		.amdhsa_accum_offset 32
		.amdhsa_reserve_vcc 1
		.amdhsa_float_round_mode_32 0
		.amdhsa_float_round_mode_16_64 0
		.amdhsa_float_denorm_mode_32 3
		.amdhsa_float_denorm_mode_16_64 3
		.amdhsa_dx10_clamp 1
		.amdhsa_ieee_mode 1
		.amdhsa_fp16_overflow 0
		.amdhsa_tg_split 0
		.amdhsa_exception_fp_ieee_invalid_op 0
		.amdhsa_exception_fp_denorm_src 0
		.amdhsa_exception_fp_ieee_div_zero 0
		.amdhsa_exception_fp_ieee_overflow 0
		.amdhsa_exception_fp_ieee_underflow 0
		.amdhsa_exception_fp_ieee_inexact 0
		.amdhsa_exception_int_div_zero 0
	.end_amdhsa_kernel
	.section	.text._ZN9rocsparseL27dense_transpose_back_kernelILj32ELj8ElfEEvT1_S1_PKT2_lPS2_l,"axG",@progbits,_ZN9rocsparseL27dense_transpose_back_kernelILj32ELj8ElfEEvT1_S1_PKT2_lPS2_l,comdat
.Lfunc_end20:
	.size	_ZN9rocsparseL27dense_transpose_back_kernelILj32ELj8ElfEEvT1_S1_PKT2_lPS2_l, .Lfunc_end20-_ZN9rocsparseL27dense_transpose_back_kernelILj32ELj8ElfEEvT1_S1_PKT2_lPS2_l
                                        ; -- End function
	.set _ZN9rocsparseL27dense_transpose_back_kernelILj32ELj8ElfEEvT1_S1_PKT2_lPS2_l.num_vgpr, 30
	.set _ZN9rocsparseL27dense_transpose_back_kernelILj32ELj8ElfEEvT1_S1_PKT2_lPS2_l.num_agpr, 0
	.set _ZN9rocsparseL27dense_transpose_back_kernelILj32ELj8ElfEEvT1_S1_PKT2_lPS2_l.numbered_sgpr, 24
	.set _ZN9rocsparseL27dense_transpose_back_kernelILj32ELj8ElfEEvT1_S1_PKT2_lPS2_l.num_named_barrier, 0
	.set _ZN9rocsparseL27dense_transpose_back_kernelILj32ELj8ElfEEvT1_S1_PKT2_lPS2_l.private_seg_size, 0
	.set _ZN9rocsparseL27dense_transpose_back_kernelILj32ELj8ElfEEvT1_S1_PKT2_lPS2_l.uses_vcc, 1
	.set _ZN9rocsparseL27dense_transpose_back_kernelILj32ELj8ElfEEvT1_S1_PKT2_lPS2_l.uses_flat_scratch, 0
	.set _ZN9rocsparseL27dense_transpose_back_kernelILj32ELj8ElfEEvT1_S1_PKT2_lPS2_l.has_dyn_sized_stack, 0
	.set _ZN9rocsparseL27dense_transpose_back_kernelILj32ELj8ElfEEvT1_S1_PKT2_lPS2_l.has_recursion, 0
	.set _ZN9rocsparseL27dense_transpose_back_kernelILj32ELj8ElfEEvT1_S1_PKT2_lPS2_l.has_indirect_call, 0
	.section	.AMDGPU.csdata,"",@progbits
; Kernel info:
; codeLenInByte = 1028
; TotalNumSgprs: 30
; NumVgprs: 30
; NumAgprs: 0
; TotalNumVgprs: 30
; ScratchSize: 0
; MemoryBound: 0
; FloatMode: 240
; IeeeMode: 1
; LDSByteSize: 4096 bytes/workgroup (compile time only)
; SGPRBlocks: 3
; VGPRBlocks: 3
; NumSGPRsForWavesPerEU: 30
; NumVGPRsForWavesPerEU: 30
; AccumOffset: 32
; Occupancy: 8
; WaveLimiterHint : 0
; COMPUTE_PGM_RSRC2:SCRATCH_EN: 0
; COMPUTE_PGM_RSRC2:USER_SGPR: 2
; COMPUTE_PGM_RSRC2:TRAP_HANDLER: 0
; COMPUTE_PGM_RSRC2:TGID_X_EN: 1
; COMPUTE_PGM_RSRC2:TGID_Y_EN: 0
; COMPUTE_PGM_RSRC2:TGID_Z_EN: 0
; COMPUTE_PGM_RSRC2:TIDIG_COMP_CNT: 0
; COMPUTE_PGM_RSRC3_GFX90A:ACCUM_OFFSET: 7
; COMPUTE_PGM_RSRC3_GFX90A:TG_SPLIT: 0
	.section	.text._ZN9rocsparseL27dense_transpose_back_kernelILj32ELj8EldEEvT1_S1_PKT2_lPS2_l,"axG",@progbits,_ZN9rocsparseL27dense_transpose_back_kernelILj32ELj8EldEEvT1_S1_PKT2_lPS2_l,comdat
	.globl	_ZN9rocsparseL27dense_transpose_back_kernelILj32ELj8EldEEvT1_S1_PKT2_lPS2_l ; -- Begin function _ZN9rocsparseL27dense_transpose_back_kernelILj32ELj8EldEEvT1_S1_PKT2_lPS2_l
	.p2align	8
	.type	_ZN9rocsparseL27dense_transpose_back_kernelILj32ELj8EldEEvT1_S1_PKT2_lPS2_l,@function
_ZN9rocsparseL27dense_transpose_back_kernelILj32ELj8EldEEvT1_S1_PKT2_lPS2_l: ; @_ZN9rocsparseL27dense_transpose_back_kernelILj32ELj8EldEEvT1_S1_PKT2_lPS2_l
; %bb.0:
	s_load_dwordx8 s[8:15], s[0:1], 0x0
	s_waitcnt lgkmcnt(0)
	v_cmp_lt_i64_e64 s[4:5], s[10:11], 1
	s_and_b64 vcc, exec, s[4:5]
	s_cbranch_vccnz .LBB21_20
; %bb.1:
	s_load_dwordx4 s[16:19], s[0:1], 0x20
	v_lshrrev_b32_e32 v2, 5, v0
	v_and_b32_e32 v0, 31, v0
	v_lshlrev_b32_e32 v6, 3, v2
	v_lshl_or_b32 v27, v0, 8, v6
	s_waitcnt lgkmcnt(0)
	v_mad_u64_u32 v[6:7], s[20:21], s18, v2, 0
	v_mov_b32_e32 v8, v7
	v_mad_u64_u32 v[8:9], s[20:21], s19, v2, v[8:9]
	v_or_b32_e32 v11, 24, v2
	v_mov_b32_e32 v7, v8
	v_mad_u64_u32 v[8:9], s[22:23], s18, v11, 0
	v_mov_b32_e32 v10, v9
	s_lshl_b32 s0, s2, 5
	v_mad_u64_u32 v[10:11], s[22:23], s19, v11, v[10:11]
	v_or_b32_e32 v13, 16, v2
	v_or_b32_e32 v14, s0, v2
	v_mov_b32_e32 v15, 0
	v_mov_b32_e32 v9, v10
	v_mad_u64_u32 v[10:11], s[22:23], s18, v13, 0
	v_or_b32_e32 v16, 8, v14
	v_mov_b32_e32 v17, v15
	v_mov_b32_e32 v12, v11
	v_cmp_le_i64_e64 s[4:5], s[8:9], v[16:17]
	v_mad_u64_u32 v[12:13], s[22:23], s19, v13, v[12:13]
	v_or_b32_e32 v17, 8, v2
	v_mov_b32_e32 v11, v12
	v_mad_u64_u32 v[12:13], s[22:23], s18, v17, 0
	v_mov_b32_e32 v24, v13
	s_lshl_b64 s[20:21], s[18:19], 8
	v_mad_u64_u32 v[24:25], s[18:19], s19, v17, v[24:25]
	v_mov_b32_e32 v13, v24
	v_lshl_add_u64 v[6:7], v[6:7], 3, s[16:17]
	v_lshl_add_u64 v[8:9], v[8:9], 3, s[16:17]
	;; [unrolled: 1-line block ×4, first 2 shown]
	v_mad_u64_u32 v[24:25], s[16:17], s14, v14, 0
	v_mov_b32_e32 v28, v25
	v_mad_u64_u32 v[28:29], s[16:17], s15, v14, v[28:29]
	v_lshlrev_b32_e32 v20, 3, v0
	v_mov_b32_e32 v25, v28
	v_mov_b32_e32 v21, v15
	;; [unrolled: 1-line block ×5, first 2 shown]
	v_cmp_le_i64_e64 s[2:3], s[8:9], v[14:15]
	v_or_b32_e32 v18, 16, v14
	v_mov_b32_e32 v19, v15
	v_or_b32_e32 v22, 24, v14
	v_mov_b32_e32 v23, v15
	v_lshl_add_u64 v[14:15], v[24:25], 3, v[20:21]
	v_mad_u64_u32 v[24:25], s[16:17], s14, v16, 0
	v_mov_b32_e32 v28, v25
	v_mad_u64_u32 v[16:17], s[16:17], s15, v16, v[28:29]
	v_mov_b32_e32 v25, v16
	v_lshl_add_u64 v[16:17], v[24:25], 3, v[20:21]
	v_mad_u64_u32 v[24:25], s[16:17], s14, v18, 0
	v_mov_b32_e32 v28, v25
	v_cmp_le_i64_e64 s[6:7], s[8:9], v[18:19]
	v_mad_u64_u32 v[18:19], s[16:17], s15, v18, v[28:29]
	v_mov_b32_e32 v25, v18
	v_lshl_add_u64 v[18:19], v[24:25], 3, v[20:21]
	v_mad_u64_u32 v[24:25], s[16:17], s14, v22, 0
	v_or_b32_e32 v4, s0, v0
	v_mov_b32_e32 v28, v25
	v_cmp_gt_i64_e64 s[0:1], s[8:9], v[4:5]
	v_cmp_le_i64_e64 s[8:9], s[8:9], v[22:23]
	v_mad_u64_u32 v[22:23], s[14:15], s15, v22, v[28:29]
	v_mov_b32_e32 v25, v22
	v_lshl_or_b32 v26, v2, 8, v20
	v_lshl_add_u64 v[20:21], v[24:25], 3, v[20:21]
	v_lshlrev_b64 v[4:5], 3, v[4:5]
	v_lshl_add_u64 v[14:15], s[12:13], 0, v[14:15]
	v_lshl_add_u64 v[16:17], s[12:13], 0, v[16:17]
	;; [unrolled: 1-line block ×4, first 2 shown]
	s_mov_b64 s[12:13], 0
	s_mov_b64 s[14:15], 0x100
	v_mov_b64_e32 v[22:23], s[10:11]
	s_branch .LBB21_3
.LBB21_2:                               ;   in Loop: Header=BB21_3 Depth=1
	s_or_b64 exec, exec, s[16:17]
	s_add_u32 s12, s12, 32
	s_addc_u32 s13, s13, 0
	v_cmp_lt_i64_e32 vcc, s[12:13], v[22:23]
	v_lshl_add_u64 v[6:7], v[6:7], 0, s[20:21]
	v_lshl_add_u64 v[8:9], v[8:9], 0, s[20:21]
	;; [unrolled: 1-line block ×8, first 2 shown]
	s_cbranch_vccz .LBB21_20
.LBB21_3:                               ; =>This Inner Loop Header: Depth=1
	v_lshl_add_u64 v[24:25], v[0:1], 0, s[12:13]
	v_cmp_le_i64_e32 vcc, s[10:11], v[24:25]
	s_nor_b64 s[18:19], vcc, s[2:3]
	s_barrier
	s_and_saveexec_b64 s[16:17], s[18:19]
	s_cbranch_execnz .LBB21_17
; %bb.4:                                ;   in Loop: Header=BB21_3 Depth=1
	s_or_b64 exec, exec, s[16:17]
	s_nor_b64 s[18:19], vcc, s[4:5]
	s_and_saveexec_b64 s[16:17], s[18:19]
	s_cbranch_execnz .LBB21_18
.LBB21_5:                               ;   in Loop: Header=BB21_3 Depth=1
	s_or_b64 exec, exec, s[16:17]
	s_nor_b64 s[18:19], vcc, s[6:7]
	s_and_saveexec_b64 s[16:17], s[18:19]
	s_cbranch_execnz .LBB21_19
.LBB21_6:                               ;   in Loop: Header=BB21_3 Depth=1
	s_or_b64 exec, exec, s[16:17]
	s_nor_b64 s[18:19], vcc, s[8:9]
	s_and_saveexec_b64 s[16:17], s[18:19]
	s_cbranch_execz .LBB21_8
.LBB21_7:                               ;   in Loop: Header=BB21_3 Depth=1
	global_load_dwordx2 v[24:25], v[20:21], off
	s_waitcnt vmcnt(0)
	ds_write_b64 v26, v[24:25] offset:6144
.LBB21_8:                               ;   in Loop: Header=BB21_3 Depth=1
	s_or_b64 exec, exec, s[16:17]
	v_lshl_add_u64 v[24:25], v[2:3], 0, s[12:13]
	v_cmp_gt_i64_e32 vcc, s[10:11], v[24:25]
	s_and_b64 s[18:19], s[0:1], vcc
	s_waitcnt lgkmcnt(0)
	s_barrier
	s_and_saveexec_b64 s[16:17], s[18:19]
	s_cbranch_execz .LBB21_10
; %bb.9:                                ;   in Loop: Header=BB21_3 Depth=1
	ds_read_b64 v[28:29], v27
	v_lshl_add_u64 v[30:31], v[6:7], 0, v[4:5]
	s_waitcnt lgkmcnt(0)
	global_store_dwordx2 v[30:31], v[28:29], off
.LBB21_10:                              ;   in Loop: Header=BB21_3 Depth=1
	s_or_b64 exec, exec, s[16:17]
	s_and_saveexec_b64 s[16:17], s[0:1]
	s_cbranch_execz .LBB21_2
; %bb.11:                               ;   in Loop: Header=BB21_3 Depth=1
	v_lshl_add_u64 v[28:29], v[24:25], 0, 8
	v_cmp_gt_i64_e32 vcc, s[10:11], v[28:29]
	s_and_saveexec_b64 s[18:19], vcc
	s_cbranch_execz .LBB21_13
; %bb.12:                               ;   in Loop: Header=BB21_3 Depth=1
	ds_read_b64 v[28:29], v27 offset:64
	v_lshl_add_u64 v[30:31], v[12:13], 0, v[4:5]
	s_waitcnt lgkmcnt(0)
	global_store_dwordx2 v[30:31], v[28:29], off
.LBB21_13:                              ;   in Loop: Header=BB21_3 Depth=1
	s_or_b64 exec, exec, s[18:19]
	v_lshl_add_u64 v[28:29], v[24:25], 0, 16
	v_cmp_gt_i64_e32 vcc, s[10:11], v[28:29]
	s_and_saveexec_b64 s[18:19], vcc
	s_cbranch_execz .LBB21_15
; %bb.14:                               ;   in Loop: Header=BB21_3 Depth=1
	ds_read_b64 v[28:29], v27 offset:128
	v_lshl_add_u64 v[30:31], v[10:11], 0, v[4:5]
	s_waitcnt lgkmcnt(0)
	global_store_dwordx2 v[30:31], v[28:29], off
.LBB21_15:                              ;   in Loop: Header=BB21_3 Depth=1
	s_or_b64 exec, exec, s[18:19]
	v_lshl_add_u64 v[24:25], v[24:25], 0, 24
	v_cmp_gt_i64_e32 vcc, s[10:11], v[24:25]
	s_and_b64 exec, exec, vcc
	s_cbranch_execz .LBB21_2
; %bb.16:                               ;   in Loop: Header=BB21_3 Depth=1
	ds_read_b64 v[24:25], v27 offset:192
	v_lshl_add_u64 v[28:29], v[8:9], 0, v[4:5]
	s_waitcnt lgkmcnt(0)
	global_store_dwordx2 v[28:29], v[24:25], off
	s_branch .LBB21_2
.LBB21_17:                              ;   in Loop: Header=BB21_3 Depth=1
	global_load_dwordx2 v[24:25], v[14:15], off
	s_waitcnt vmcnt(0)
	ds_write_b64 v26, v[24:25]
	s_or_b64 exec, exec, s[16:17]
	s_nor_b64 s[18:19], vcc, s[4:5]
	s_and_saveexec_b64 s[16:17], s[18:19]
	s_cbranch_execz .LBB21_5
.LBB21_18:                              ;   in Loop: Header=BB21_3 Depth=1
	global_load_dwordx2 v[24:25], v[16:17], off
	s_waitcnt vmcnt(0)
	ds_write_b64 v26, v[24:25] offset:2048
	s_or_b64 exec, exec, s[16:17]
	s_nor_b64 s[18:19], vcc, s[6:7]
	s_and_saveexec_b64 s[16:17], s[18:19]
	s_cbranch_execz .LBB21_6
.LBB21_19:                              ;   in Loop: Header=BB21_3 Depth=1
	global_load_dwordx2 v[24:25], v[18:19], off
	s_waitcnt vmcnt(0)
	ds_write_b64 v26, v[24:25] offset:4096
	s_or_b64 exec, exec, s[16:17]
	s_nor_b64 s[18:19], vcc, s[8:9]
	s_and_saveexec_b64 s[16:17], s[18:19]
	s_cbranch_execnz .LBB21_7
	s_branch .LBB21_8
.LBB21_20:
	s_endpgm
	.section	.rodata,"a",@progbits
	.p2align	6, 0x0
	.amdhsa_kernel _ZN9rocsparseL27dense_transpose_back_kernelILj32ELj8EldEEvT1_S1_PKT2_lPS2_l
		.amdhsa_group_segment_fixed_size 8192
		.amdhsa_private_segment_fixed_size 0
		.amdhsa_kernarg_size 48
		.amdhsa_user_sgpr_count 2
		.amdhsa_user_sgpr_dispatch_ptr 0
		.amdhsa_user_sgpr_queue_ptr 0
		.amdhsa_user_sgpr_kernarg_segment_ptr 1
		.amdhsa_user_sgpr_dispatch_id 0
		.amdhsa_user_sgpr_kernarg_preload_length 0
		.amdhsa_user_sgpr_kernarg_preload_offset 0
		.amdhsa_user_sgpr_private_segment_size 0
		.amdhsa_uses_dynamic_stack 0
		.amdhsa_enable_private_segment 0
		.amdhsa_system_sgpr_workgroup_id_x 1
		.amdhsa_system_sgpr_workgroup_id_y 0
		.amdhsa_system_sgpr_workgroup_id_z 0
		.amdhsa_system_sgpr_workgroup_info 0
		.amdhsa_system_vgpr_workitem_id 0
		.amdhsa_next_free_vgpr 32
		.amdhsa_next_free_sgpr 24
		.amdhsa_accum_offset 32
		.amdhsa_reserve_vcc 1
		.amdhsa_float_round_mode_32 0
		.amdhsa_float_round_mode_16_64 0
		.amdhsa_float_denorm_mode_32 3
		.amdhsa_float_denorm_mode_16_64 3
		.amdhsa_dx10_clamp 1
		.amdhsa_ieee_mode 1
		.amdhsa_fp16_overflow 0
		.amdhsa_tg_split 0
		.amdhsa_exception_fp_ieee_invalid_op 0
		.amdhsa_exception_fp_denorm_src 0
		.amdhsa_exception_fp_ieee_div_zero 0
		.amdhsa_exception_fp_ieee_overflow 0
		.amdhsa_exception_fp_ieee_underflow 0
		.amdhsa_exception_fp_ieee_inexact 0
		.amdhsa_exception_int_div_zero 0
	.end_amdhsa_kernel
	.section	.text._ZN9rocsparseL27dense_transpose_back_kernelILj32ELj8EldEEvT1_S1_PKT2_lPS2_l,"axG",@progbits,_ZN9rocsparseL27dense_transpose_back_kernelILj32ELj8EldEEvT1_S1_PKT2_lPS2_l,comdat
.Lfunc_end21:
	.size	_ZN9rocsparseL27dense_transpose_back_kernelILj32ELj8EldEEvT1_S1_PKT2_lPS2_l, .Lfunc_end21-_ZN9rocsparseL27dense_transpose_back_kernelILj32ELj8EldEEvT1_S1_PKT2_lPS2_l
                                        ; -- End function
	.set _ZN9rocsparseL27dense_transpose_back_kernelILj32ELj8EldEEvT1_S1_PKT2_lPS2_l.num_vgpr, 32
	.set _ZN9rocsparseL27dense_transpose_back_kernelILj32ELj8EldEEvT1_S1_PKT2_lPS2_l.num_agpr, 0
	.set _ZN9rocsparseL27dense_transpose_back_kernelILj32ELj8EldEEvT1_S1_PKT2_lPS2_l.numbered_sgpr, 24
	.set _ZN9rocsparseL27dense_transpose_back_kernelILj32ELj8EldEEvT1_S1_PKT2_lPS2_l.num_named_barrier, 0
	.set _ZN9rocsparseL27dense_transpose_back_kernelILj32ELj8EldEEvT1_S1_PKT2_lPS2_l.private_seg_size, 0
	.set _ZN9rocsparseL27dense_transpose_back_kernelILj32ELj8EldEEvT1_S1_PKT2_lPS2_l.uses_vcc, 1
	.set _ZN9rocsparseL27dense_transpose_back_kernelILj32ELj8EldEEvT1_S1_PKT2_lPS2_l.uses_flat_scratch, 0
	.set _ZN9rocsparseL27dense_transpose_back_kernelILj32ELj8EldEEvT1_S1_PKT2_lPS2_l.has_dyn_sized_stack, 0
	.set _ZN9rocsparseL27dense_transpose_back_kernelILj32ELj8EldEEvT1_S1_PKT2_lPS2_l.has_recursion, 0
	.set _ZN9rocsparseL27dense_transpose_back_kernelILj32ELj8EldEEvT1_S1_PKT2_lPS2_l.has_indirect_call, 0
	.section	.AMDGPU.csdata,"",@progbits
; Kernel info:
; codeLenInByte = 1028
; TotalNumSgprs: 30
; NumVgprs: 32
; NumAgprs: 0
; TotalNumVgprs: 32
; ScratchSize: 0
; MemoryBound: 1
; FloatMode: 240
; IeeeMode: 1
; LDSByteSize: 8192 bytes/workgroup (compile time only)
; SGPRBlocks: 3
; VGPRBlocks: 3
; NumSGPRsForWavesPerEU: 30
; NumVGPRsForWavesPerEU: 32
; AccumOffset: 32
; Occupancy: 8
; WaveLimiterHint : 0
; COMPUTE_PGM_RSRC2:SCRATCH_EN: 0
; COMPUTE_PGM_RSRC2:USER_SGPR: 2
; COMPUTE_PGM_RSRC2:TRAP_HANDLER: 0
; COMPUTE_PGM_RSRC2:TGID_X_EN: 1
; COMPUTE_PGM_RSRC2:TGID_Y_EN: 0
; COMPUTE_PGM_RSRC2:TGID_Z_EN: 0
; COMPUTE_PGM_RSRC2:TIDIG_COMP_CNT: 0
; COMPUTE_PGM_RSRC3_GFX90A:ACCUM_OFFSET: 7
; COMPUTE_PGM_RSRC3_GFX90A:TG_SPLIT: 0
	.section	.text._ZN9rocsparseL27dense_transpose_back_kernelILj32ELj8El21rocsparse_complex_numIfEEEvT1_S3_PKT2_lPS4_l,"axG",@progbits,_ZN9rocsparseL27dense_transpose_back_kernelILj32ELj8El21rocsparse_complex_numIfEEEvT1_S3_PKT2_lPS4_l,comdat
	.globl	_ZN9rocsparseL27dense_transpose_back_kernelILj32ELj8El21rocsparse_complex_numIfEEEvT1_S3_PKT2_lPS4_l ; -- Begin function _ZN9rocsparseL27dense_transpose_back_kernelILj32ELj8El21rocsparse_complex_numIfEEEvT1_S3_PKT2_lPS4_l
	.p2align	8
	.type	_ZN9rocsparseL27dense_transpose_back_kernelILj32ELj8El21rocsparse_complex_numIfEEEvT1_S3_PKT2_lPS4_l,@function
_ZN9rocsparseL27dense_transpose_back_kernelILj32ELj8El21rocsparse_complex_numIfEEEvT1_S3_PKT2_lPS4_l: ; @_ZN9rocsparseL27dense_transpose_back_kernelILj32ELj8El21rocsparse_complex_numIfEEEvT1_S3_PKT2_lPS4_l
; %bb.0:
	s_load_dwordx8 s[8:15], s[0:1], 0x0
	s_waitcnt lgkmcnt(0)
	v_cmp_lt_i64_e64 s[4:5], s[10:11], 1
	s_and_b64 vcc, exec, s[4:5]
	s_cbranch_vccnz .LBB22_20
; %bb.1:
	s_load_dwordx4 s[16:19], s[0:1], 0x20
	v_lshrrev_b32_e32 v2, 5, v0
	v_and_b32_e32 v0, 31, v0
	v_lshlrev_b32_e32 v6, 3, v2
	v_lshl_or_b32 v27, v0, 8, v6
	s_waitcnt lgkmcnt(0)
	v_mad_u64_u32 v[6:7], s[20:21], s18, v2, 0
	v_mov_b32_e32 v8, v7
	v_mad_u64_u32 v[8:9], s[20:21], s19, v2, v[8:9]
	v_or_b32_e32 v11, 24, v2
	v_mov_b32_e32 v7, v8
	v_mad_u64_u32 v[8:9], s[22:23], s18, v11, 0
	v_mov_b32_e32 v10, v9
	s_lshl_b32 s0, s2, 5
	v_mad_u64_u32 v[10:11], s[22:23], s19, v11, v[10:11]
	v_or_b32_e32 v13, 16, v2
	v_or_b32_e32 v14, s0, v2
	v_mov_b32_e32 v15, 0
	v_mov_b32_e32 v9, v10
	v_mad_u64_u32 v[10:11], s[22:23], s18, v13, 0
	v_or_b32_e32 v16, 8, v14
	v_mov_b32_e32 v17, v15
	v_mov_b32_e32 v12, v11
	v_cmp_le_i64_e64 s[4:5], s[8:9], v[16:17]
	v_mad_u64_u32 v[12:13], s[22:23], s19, v13, v[12:13]
	v_or_b32_e32 v17, 8, v2
	v_mov_b32_e32 v11, v12
	v_mad_u64_u32 v[12:13], s[22:23], s18, v17, 0
	v_mov_b32_e32 v24, v13
	s_lshl_b64 s[20:21], s[18:19], 8
	v_mad_u64_u32 v[24:25], s[18:19], s19, v17, v[24:25]
	v_mov_b32_e32 v13, v24
	v_lshl_add_u64 v[6:7], v[6:7], 3, s[16:17]
	v_lshl_add_u64 v[8:9], v[8:9], 3, s[16:17]
	;; [unrolled: 1-line block ×4, first 2 shown]
	v_mad_u64_u32 v[24:25], s[16:17], s14, v14, 0
	v_mov_b32_e32 v28, v25
	v_mad_u64_u32 v[28:29], s[16:17], s15, v14, v[28:29]
	v_lshlrev_b32_e32 v20, 3, v0
	v_mov_b32_e32 v25, v28
	v_mov_b32_e32 v21, v15
	;; [unrolled: 1-line block ×5, first 2 shown]
	v_cmp_le_i64_e64 s[2:3], s[8:9], v[14:15]
	v_or_b32_e32 v18, 16, v14
	v_mov_b32_e32 v19, v15
	v_or_b32_e32 v22, 24, v14
	v_mov_b32_e32 v23, v15
	v_lshl_add_u64 v[14:15], v[24:25], 3, v[20:21]
	v_mad_u64_u32 v[24:25], s[16:17], s14, v16, 0
	v_mov_b32_e32 v28, v25
	v_mad_u64_u32 v[16:17], s[16:17], s15, v16, v[28:29]
	v_mov_b32_e32 v25, v16
	v_lshl_add_u64 v[16:17], v[24:25], 3, v[20:21]
	v_mad_u64_u32 v[24:25], s[16:17], s14, v18, 0
	v_mov_b32_e32 v28, v25
	v_cmp_le_i64_e64 s[6:7], s[8:9], v[18:19]
	v_mad_u64_u32 v[18:19], s[16:17], s15, v18, v[28:29]
	v_mov_b32_e32 v25, v18
	v_lshl_add_u64 v[18:19], v[24:25], 3, v[20:21]
	v_mad_u64_u32 v[24:25], s[16:17], s14, v22, 0
	v_or_b32_e32 v4, s0, v0
	v_mov_b32_e32 v28, v25
	v_cmp_gt_i64_e64 s[0:1], s[8:9], v[4:5]
	v_cmp_le_i64_e64 s[8:9], s[8:9], v[22:23]
	v_mad_u64_u32 v[22:23], s[14:15], s15, v22, v[28:29]
	v_mov_b32_e32 v25, v22
	v_lshl_or_b32 v26, v2, 8, v20
	v_lshl_add_u64 v[20:21], v[24:25], 3, v[20:21]
	v_lshlrev_b64 v[4:5], 3, v[4:5]
	v_lshl_add_u64 v[14:15], s[12:13], 0, v[14:15]
	v_lshl_add_u64 v[16:17], s[12:13], 0, v[16:17]
	v_lshl_add_u64 v[18:19], s[12:13], 0, v[18:19]
	v_lshl_add_u64 v[20:21], s[12:13], 0, v[20:21]
	s_mov_b64 s[12:13], 0
	s_mov_b64 s[14:15], 0x100
	v_mov_b64_e32 v[22:23], s[10:11]
	s_branch .LBB22_3
.LBB22_2:                               ;   in Loop: Header=BB22_3 Depth=1
	s_or_b64 exec, exec, s[16:17]
	s_add_u32 s12, s12, 32
	s_addc_u32 s13, s13, 0
	v_cmp_lt_i64_e32 vcc, s[12:13], v[22:23]
	v_lshl_add_u64 v[6:7], v[6:7], 0, s[20:21]
	v_lshl_add_u64 v[8:9], v[8:9], 0, s[20:21]
	;; [unrolled: 1-line block ×8, first 2 shown]
	s_cbranch_vccz .LBB22_20
.LBB22_3:                               ; =>This Inner Loop Header: Depth=1
	v_lshl_add_u64 v[24:25], v[0:1], 0, s[12:13]
	v_cmp_le_i64_e32 vcc, s[10:11], v[24:25]
	s_nor_b64 s[18:19], vcc, s[2:3]
	s_barrier
	s_and_saveexec_b64 s[16:17], s[18:19]
	s_cbranch_execnz .LBB22_17
; %bb.4:                                ;   in Loop: Header=BB22_3 Depth=1
	s_or_b64 exec, exec, s[16:17]
	s_nor_b64 s[18:19], vcc, s[4:5]
	s_and_saveexec_b64 s[16:17], s[18:19]
	s_cbranch_execnz .LBB22_18
.LBB22_5:                               ;   in Loop: Header=BB22_3 Depth=1
	s_or_b64 exec, exec, s[16:17]
	s_nor_b64 s[18:19], vcc, s[6:7]
	s_and_saveexec_b64 s[16:17], s[18:19]
	s_cbranch_execnz .LBB22_19
.LBB22_6:                               ;   in Loop: Header=BB22_3 Depth=1
	s_or_b64 exec, exec, s[16:17]
	s_nor_b64 s[18:19], vcc, s[8:9]
	s_and_saveexec_b64 s[16:17], s[18:19]
	s_cbranch_execz .LBB22_8
.LBB22_7:                               ;   in Loop: Header=BB22_3 Depth=1
	global_load_dwordx2 v[24:25], v[20:21], off
	s_waitcnt vmcnt(0)
	ds_write_b64 v26, v[24:25] offset:6144
.LBB22_8:                               ;   in Loop: Header=BB22_3 Depth=1
	s_or_b64 exec, exec, s[16:17]
	v_lshl_add_u64 v[24:25], v[2:3], 0, s[12:13]
	v_cmp_gt_i64_e32 vcc, s[10:11], v[24:25]
	s_and_b64 s[18:19], s[0:1], vcc
	s_waitcnt lgkmcnt(0)
	s_barrier
	s_and_saveexec_b64 s[16:17], s[18:19]
	s_cbranch_execz .LBB22_10
; %bb.9:                                ;   in Loop: Header=BB22_3 Depth=1
	ds_read_b64 v[28:29], v27
	v_lshl_add_u64 v[30:31], v[6:7], 0, v[4:5]
	s_waitcnt lgkmcnt(0)
	global_store_dwordx2 v[30:31], v[28:29], off
.LBB22_10:                              ;   in Loop: Header=BB22_3 Depth=1
	s_or_b64 exec, exec, s[16:17]
	s_and_saveexec_b64 s[16:17], s[0:1]
	s_cbranch_execz .LBB22_2
; %bb.11:                               ;   in Loop: Header=BB22_3 Depth=1
	v_lshl_add_u64 v[28:29], v[24:25], 0, 8
	v_cmp_gt_i64_e32 vcc, s[10:11], v[28:29]
	s_and_saveexec_b64 s[18:19], vcc
	s_cbranch_execz .LBB22_13
; %bb.12:                               ;   in Loop: Header=BB22_3 Depth=1
	ds_read_b64 v[28:29], v27 offset:64
	v_lshl_add_u64 v[30:31], v[12:13], 0, v[4:5]
	s_waitcnt lgkmcnt(0)
	global_store_dwordx2 v[30:31], v[28:29], off
.LBB22_13:                              ;   in Loop: Header=BB22_3 Depth=1
	s_or_b64 exec, exec, s[18:19]
	v_lshl_add_u64 v[28:29], v[24:25], 0, 16
	v_cmp_gt_i64_e32 vcc, s[10:11], v[28:29]
	s_and_saveexec_b64 s[18:19], vcc
	s_cbranch_execz .LBB22_15
; %bb.14:                               ;   in Loop: Header=BB22_3 Depth=1
	ds_read_b64 v[28:29], v27 offset:128
	v_lshl_add_u64 v[30:31], v[10:11], 0, v[4:5]
	s_waitcnt lgkmcnt(0)
	global_store_dwordx2 v[30:31], v[28:29], off
.LBB22_15:                              ;   in Loop: Header=BB22_3 Depth=1
	s_or_b64 exec, exec, s[18:19]
	v_lshl_add_u64 v[24:25], v[24:25], 0, 24
	v_cmp_gt_i64_e32 vcc, s[10:11], v[24:25]
	s_and_b64 exec, exec, vcc
	s_cbranch_execz .LBB22_2
; %bb.16:                               ;   in Loop: Header=BB22_3 Depth=1
	ds_read_b64 v[24:25], v27 offset:192
	v_lshl_add_u64 v[28:29], v[8:9], 0, v[4:5]
	s_waitcnt lgkmcnt(0)
	global_store_dwordx2 v[28:29], v[24:25], off
	s_branch .LBB22_2
.LBB22_17:                              ;   in Loop: Header=BB22_3 Depth=1
	global_load_dwordx2 v[24:25], v[14:15], off
	s_waitcnt vmcnt(0)
	ds_write_b64 v26, v[24:25]
	s_or_b64 exec, exec, s[16:17]
	s_nor_b64 s[18:19], vcc, s[4:5]
	s_and_saveexec_b64 s[16:17], s[18:19]
	s_cbranch_execz .LBB22_5
.LBB22_18:                              ;   in Loop: Header=BB22_3 Depth=1
	global_load_dwordx2 v[24:25], v[16:17], off
	s_waitcnt vmcnt(0)
	ds_write_b64 v26, v[24:25] offset:2048
	s_or_b64 exec, exec, s[16:17]
	s_nor_b64 s[18:19], vcc, s[6:7]
	s_and_saveexec_b64 s[16:17], s[18:19]
	s_cbranch_execz .LBB22_6
.LBB22_19:                              ;   in Loop: Header=BB22_3 Depth=1
	global_load_dwordx2 v[24:25], v[18:19], off
	s_waitcnt vmcnt(0)
	ds_write_b64 v26, v[24:25] offset:4096
	s_or_b64 exec, exec, s[16:17]
	s_nor_b64 s[18:19], vcc, s[8:9]
	s_and_saveexec_b64 s[16:17], s[18:19]
	s_cbranch_execnz .LBB22_7
	s_branch .LBB22_8
.LBB22_20:
	s_endpgm
	.section	.rodata,"a",@progbits
	.p2align	6, 0x0
	.amdhsa_kernel _ZN9rocsparseL27dense_transpose_back_kernelILj32ELj8El21rocsparse_complex_numIfEEEvT1_S3_PKT2_lPS4_l
		.amdhsa_group_segment_fixed_size 8192
		.amdhsa_private_segment_fixed_size 0
		.amdhsa_kernarg_size 48
		.amdhsa_user_sgpr_count 2
		.amdhsa_user_sgpr_dispatch_ptr 0
		.amdhsa_user_sgpr_queue_ptr 0
		.amdhsa_user_sgpr_kernarg_segment_ptr 1
		.amdhsa_user_sgpr_dispatch_id 0
		.amdhsa_user_sgpr_kernarg_preload_length 0
		.amdhsa_user_sgpr_kernarg_preload_offset 0
		.amdhsa_user_sgpr_private_segment_size 0
		.amdhsa_uses_dynamic_stack 0
		.amdhsa_enable_private_segment 0
		.amdhsa_system_sgpr_workgroup_id_x 1
		.amdhsa_system_sgpr_workgroup_id_y 0
		.amdhsa_system_sgpr_workgroup_id_z 0
		.amdhsa_system_sgpr_workgroup_info 0
		.amdhsa_system_vgpr_workitem_id 0
		.amdhsa_next_free_vgpr 32
		.amdhsa_next_free_sgpr 24
		.amdhsa_accum_offset 32
		.amdhsa_reserve_vcc 1
		.amdhsa_float_round_mode_32 0
		.amdhsa_float_round_mode_16_64 0
		.amdhsa_float_denorm_mode_32 3
		.amdhsa_float_denorm_mode_16_64 3
		.amdhsa_dx10_clamp 1
		.amdhsa_ieee_mode 1
		.amdhsa_fp16_overflow 0
		.amdhsa_tg_split 0
		.amdhsa_exception_fp_ieee_invalid_op 0
		.amdhsa_exception_fp_denorm_src 0
		.amdhsa_exception_fp_ieee_div_zero 0
		.amdhsa_exception_fp_ieee_overflow 0
		.amdhsa_exception_fp_ieee_underflow 0
		.amdhsa_exception_fp_ieee_inexact 0
		.amdhsa_exception_int_div_zero 0
	.end_amdhsa_kernel
	.section	.text._ZN9rocsparseL27dense_transpose_back_kernelILj32ELj8El21rocsparse_complex_numIfEEEvT1_S3_PKT2_lPS4_l,"axG",@progbits,_ZN9rocsparseL27dense_transpose_back_kernelILj32ELj8El21rocsparse_complex_numIfEEEvT1_S3_PKT2_lPS4_l,comdat
.Lfunc_end22:
	.size	_ZN9rocsparseL27dense_transpose_back_kernelILj32ELj8El21rocsparse_complex_numIfEEEvT1_S3_PKT2_lPS4_l, .Lfunc_end22-_ZN9rocsparseL27dense_transpose_back_kernelILj32ELj8El21rocsparse_complex_numIfEEEvT1_S3_PKT2_lPS4_l
                                        ; -- End function
	.set _ZN9rocsparseL27dense_transpose_back_kernelILj32ELj8El21rocsparse_complex_numIfEEEvT1_S3_PKT2_lPS4_l.num_vgpr, 32
	.set _ZN9rocsparseL27dense_transpose_back_kernelILj32ELj8El21rocsparse_complex_numIfEEEvT1_S3_PKT2_lPS4_l.num_agpr, 0
	.set _ZN9rocsparseL27dense_transpose_back_kernelILj32ELj8El21rocsparse_complex_numIfEEEvT1_S3_PKT2_lPS4_l.numbered_sgpr, 24
	.set _ZN9rocsparseL27dense_transpose_back_kernelILj32ELj8El21rocsparse_complex_numIfEEEvT1_S3_PKT2_lPS4_l.num_named_barrier, 0
	.set _ZN9rocsparseL27dense_transpose_back_kernelILj32ELj8El21rocsparse_complex_numIfEEEvT1_S3_PKT2_lPS4_l.private_seg_size, 0
	.set _ZN9rocsparseL27dense_transpose_back_kernelILj32ELj8El21rocsparse_complex_numIfEEEvT1_S3_PKT2_lPS4_l.uses_vcc, 1
	.set _ZN9rocsparseL27dense_transpose_back_kernelILj32ELj8El21rocsparse_complex_numIfEEEvT1_S3_PKT2_lPS4_l.uses_flat_scratch, 0
	.set _ZN9rocsparseL27dense_transpose_back_kernelILj32ELj8El21rocsparse_complex_numIfEEEvT1_S3_PKT2_lPS4_l.has_dyn_sized_stack, 0
	.set _ZN9rocsparseL27dense_transpose_back_kernelILj32ELj8El21rocsparse_complex_numIfEEEvT1_S3_PKT2_lPS4_l.has_recursion, 0
	.set _ZN9rocsparseL27dense_transpose_back_kernelILj32ELj8El21rocsparse_complex_numIfEEEvT1_S3_PKT2_lPS4_l.has_indirect_call, 0
	.section	.AMDGPU.csdata,"",@progbits
; Kernel info:
; codeLenInByte = 1028
; TotalNumSgprs: 30
; NumVgprs: 32
; NumAgprs: 0
; TotalNumVgprs: 32
; ScratchSize: 0
; MemoryBound: 1
; FloatMode: 240
; IeeeMode: 1
; LDSByteSize: 8192 bytes/workgroup (compile time only)
; SGPRBlocks: 3
; VGPRBlocks: 3
; NumSGPRsForWavesPerEU: 30
; NumVGPRsForWavesPerEU: 32
; AccumOffset: 32
; Occupancy: 8
; WaveLimiterHint : 0
; COMPUTE_PGM_RSRC2:SCRATCH_EN: 0
; COMPUTE_PGM_RSRC2:USER_SGPR: 2
; COMPUTE_PGM_RSRC2:TRAP_HANDLER: 0
; COMPUTE_PGM_RSRC2:TGID_X_EN: 1
; COMPUTE_PGM_RSRC2:TGID_Y_EN: 0
; COMPUTE_PGM_RSRC2:TGID_Z_EN: 0
; COMPUTE_PGM_RSRC2:TIDIG_COMP_CNT: 0
; COMPUTE_PGM_RSRC3_GFX90A:ACCUM_OFFSET: 7
; COMPUTE_PGM_RSRC3_GFX90A:TG_SPLIT: 0
	.section	.text._ZN9rocsparseL27dense_transpose_back_kernelILj32ELj8El21rocsparse_complex_numIdEEEvT1_S3_PKT2_lPS4_l,"axG",@progbits,_ZN9rocsparseL27dense_transpose_back_kernelILj32ELj8El21rocsparse_complex_numIdEEEvT1_S3_PKT2_lPS4_l,comdat
	.globl	_ZN9rocsparseL27dense_transpose_back_kernelILj32ELj8El21rocsparse_complex_numIdEEEvT1_S3_PKT2_lPS4_l ; -- Begin function _ZN9rocsparseL27dense_transpose_back_kernelILj32ELj8El21rocsparse_complex_numIdEEEvT1_S3_PKT2_lPS4_l
	.p2align	8
	.type	_ZN9rocsparseL27dense_transpose_back_kernelILj32ELj8El21rocsparse_complex_numIdEEEvT1_S3_PKT2_lPS4_l,@function
_ZN9rocsparseL27dense_transpose_back_kernelILj32ELj8El21rocsparse_complex_numIdEEEvT1_S3_PKT2_lPS4_l: ; @_ZN9rocsparseL27dense_transpose_back_kernelILj32ELj8El21rocsparse_complex_numIdEEEvT1_S3_PKT2_lPS4_l
; %bb.0:
	s_load_dwordx8 s[8:15], s[0:1], 0x0
	s_waitcnt lgkmcnt(0)
	v_cmp_lt_i64_e64 s[4:5], s[10:11], 1
	s_and_b64 vcc, exec, s[4:5]
	s_cbranch_vccnz .LBB23_20
; %bb.1:
	s_load_dwordx4 s[16:19], s[0:1], 0x20
	v_lshrrev_b32_e32 v2, 5, v0
	v_and_b32_e32 v0, 31, v0
	v_lshlrev_b32_e32 v6, 4, v2
	v_lshl_or_b32 v27, v0, 9, v6
	s_waitcnt lgkmcnt(0)
	v_mad_u64_u32 v[6:7], s[20:21], s18, v2, 0
	v_mov_b32_e32 v8, v7
	v_mad_u64_u32 v[8:9], s[20:21], s19, v2, v[8:9]
	v_or_b32_e32 v11, 24, v2
	v_mov_b32_e32 v7, v8
	v_mad_u64_u32 v[8:9], s[22:23], s18, v11, 0
	v_mov_b32_e32 v10, v9
	s_lshl_b32 s0, s2, 5
	v_mad_u64_u32 v[10:11], s[22:23], s19, v11, v[10:11]
	v_or_b32_e32 v13, 16, v2
	v_or_b32_e32 v14, s0, v2
	v_mov_b32_e32 v15, 0
	v_mov_b32_e32 v9, v10
	v_mad_u64_u32 v[10:11], s[22:23], s18, v13, 0
	v_or_b32_e32 v16, 8, v14
	v_mov_b32_e32 v17, v15
	v_mov_b32_e32 v12, v11
	v_cmp_le_i64_e64 s[4:5], s[8:9], v[16:17]
	v_mad_u64_u32 v[12:13], s[22:23], s19, v13, v[12:13]
	v_or_b32_e32 v17, 8, v2
	v_mov_b32_e32 v11, v12
	v_mad_u64_u32 v[12:13], s[22:23], s18, v17, 0
	v_mov_b32_e32 v24, v13
	s_lshl_b64 s[20:21], s[18:19], 9
	v_mad_u64_u32 v[24:25], s[18:19], s19, v17, v[24:25]
	v_mov_b32_e32 v13, v24
	v_lshl_add_u64 v[6:7], v[6:7], 4, s[16:17]
	v_lshl_add_u64 v[8:9], v[8:9], 4, s[16:17]
	;; [unrolled: 1-line block ×4, first 2 shown]
	v_mad_u64_u32 v[24:25], s[16:17], s14, v14, 0
	v_mov_b32_e32 v34, v25
	v_mad_u64_u32 v[34:35], s[16:17], s15, v14, v[34:35]
	v_lshlrev_b32_e32 v20, 4, v0
	v_mov_b32_e32 v25, v34
	v_mov_b32_e32 v21, v15
	;; [unrolled: 1-line block ×5, first 2 shown]
	v_cmp_le_i64_e64 s[2:3], s[8:9], v[14:15]
	v_or_b32_e32 v18, 16, v14
	v_mov_b32_e32 v19, v15
	v_or_b32_e32 v22, 24, v14
	v_mov_b32_e32 v23, v15
	v_lshl_add_u64 v[14:15], v[24:25], 4, v[20:21]
	v_mad_u64_u32 v[24:25], s[16:17], s14, v16, 0
	v_mov_b32_e32 v34, v25
	v_mad_u64_u32 v[16:17], s[16:17], s15, v16, v[34:35]
	v_mov_b32_e32 v25, v16
	v_lshl_add_u64 v[16:17], v[24:25], 4, v[20:21]
	v_mad_u64_u32 v[24:25], s[16:17], s14, v18, 0
	v_mov_b32_e32 v34, v25
	v_cmp_le_i64_e64 s[6:7], s[8:9], v[18:19]
	v_mad_u64_u32 v[18:19], s[16:17], s15, v18, v[34:35]
	v_mov_b32_e32 v25, v18
	v_lshl_add_u64 v[18:19], v[24:25], 4, v[20:21]
	v_mad_u64_u32 v[24:25], s[16:17], s14, v22, 0
	v_or_b32_e32 v4, s0, v0
	v_mov_b32_e32 v34, v25
	v_cmp_gt_i64_e64 s[0:1], s[8:9], v[4:5]
	v_cmp_le_i64_e64 s[8:9], s[8:9], v[22:23]
	v_mad_u64_u32 v[22:23], s[14:15], s15, v22, v[34:35]
	v_mov_b32_e32 v25, v22
	v_lshl_or_b32 v26, v2, 9, v20
	v_lshl_add_u64 v[20:21], v[24:25], 4, v[20:21]
	v_or_b32_e32 v28, 0x1000, v26
	v_or_b32_e32 v29, 0x2000, v26
	v_or_b32_e32 v30, 0x3000, v26
	v_or_b32_e32 v31, 0x80, v27
	v_or_b32_e32 v32, 0x100, v27
	v_or_b32_e32 v33, 0x180, v27
	v_lshlrev_b64 v[4:5], 4, v[4:5]
	v_lshl_add_u64 v[14:15], s[12:13], 0, v[14:15]
	v_lshl_add_u64 v[16:17], s[12:13], 0, v[16:17]
	v_lshl_add_u64 v[18:19], s[12:13], 0, v[18:19]
	v_lshl_add_u64 v[20:21], s[12:13], 0, v[20:21]
	s_mov_b64 s[12:13], 0
	s_mov_b64 s[14:15], 0x200
	v_mov_b64_e32 v[22:23], s[10:11]
	s_branch .LBB23_3
.LBB23_2:                               ;   in Loop: Header=BB23_3 Depth=1
	s_or_b64 exec, exec, s[16:17]
	s_add_u32 s12, s12, 32
	s_addc_u32 s13, s13, 0
	v_cmp_lt_i64_e32 vcc, s[12:13], v[22:23]
	v_lshl_add_u64 v[6:7], v[6:7], 0, s[20:21]
	v_lshl_add_u64 v[8:9], v[8:9], 0, s[20:21]
	v_lshl_add_u64 v[10:11], v[10:11], 0, s[20:21]
	v_lshl_add_u64 v[12:13], v[12:13], 0, s[20:21]
	v_lshl_add_u64 v[14:15], v[14:15], 0, s[14:15]
	v_lshl_add_u64 v[16:17], v[16:17], 0, s[14:15]
	v_lshl_add_u64 v[18:19], v[18:19], 0, s[14:15]
	v_lshl_add_u64 v[20:21], v[20:21], 0, s[14:15]
	s_cbranch_vccz .LBB23_20
.LBB23_3:                               ; =>This Inner Loop Header: Depth=1
	v_lshl_add_u64 v[24:25], v[0:1], 0, s[12:13]
	v_cmp_le_i64_e32 vcc, s[10:11], v[24:25]
	s_nor_b64 s[18:19], vcc, s[2:3]
	s_barrier
	s_and_saveexec_b64 s[16:17], s[18:19]
	s_cbranch_execnz .LBB23_17
; %bb.4:                                ;   in Loop: Header=BB23_3 Depth=1
	s_or_b64 exec, exec, s[16:17]
	s_nor_b64 s[18:19], vcc, s[4:5]
	s_and_saveexec_b64 s[16:17], s[18:19]
	s_cbranch_execnz .LBB23_18
.LBB23_5:                               ;   in Loop: Header=BB23_3 Depth=1
	s_or_b64 exec, exec, s[16:17]
	s_nor_b64 s[18:19], vcc, s[6:7]
	s_and_saveexec_b64 s[16:17], s[18:19]
	s_cbranch_execnz .LBB23_19
.LBB23_6:                               ;   in Loop: Header=BB23_3 Depth=1
	s_or_b64 exec, exec, s[16:17]
	s_nor_b64 s[18:19], vcc, s[8:9]
	s_and_saveexec_b64 s[16:17], s[18:19]
	s_cbranch_execz .LBB23_8
.LBB23_7:                               ;   in Loop: Header=BB23_3 Depth=1
	global_load_dwordx4 v[34:37], v[20:21], off
	s_waitcnt vmcnt(0)
	ds_write2_b64 v30, v[34:35], v[36:37] offset1:1
.LBB23_8:                               ;   in Loop: Header=BB23_3 Depth=1
	s_or_b64 exec, exec, s[16:17]
	v_lshl_add_u64 v[24:25], v[2:3], 0, s[12:13]
	v_cmp_gt_i64_e32 vcc, s[10:11], v[24:25]
	s_and_b64 s[18:19], s[0:1], vcc
	s_waitcnt lgkmcnt(0)
	s_barrier
	s_and_saveexec_b64 s[16:17], s[18:19]
	s_cbranch_execz .LBB23_10
; %bb.9:                                ;   in Loop: Header=BB23_3 Depth=1
	ds_read2_b64 v[34:37], v27 offset1:1
	v_lshl_add_u64 v[38:39], v[6:7], 0, v[4:5]
	s_waitcnt lgkmcnt(0)
	global_store_dwordx4 v[38:39], v[34:37], off
.LBB23_10:                              ;   in Loop: Header=BB23_3 Depth=1
	s_or_b64 exec, exec, s[16:17]
	s_and_saveexec_b64 s[16:17], s[0:1]
	s_cbranch_execz .LBB23_2
; %bb.11:                               ;   in Loop: Header=BB23_3 Depth=1
	v_lshl_add_u64 v[34:35], v[24:25], 0, 8
	v_cmp_gt_i64_e32 vcc, s[10:11], v[34:35]
	s_and_saveexec_b64 s[18:19], vcc
	s_cbranch_execz .LBB23_13
; %bb.12:                               ;   in Loop: Header=BB23_3 Depth=1
	ds_read2_b64 v[34:37], v31 offset1:1
	v_lshl_add_u64 v[38:39], v[12:13], 0, v[4:5]
	s_waitcnt lgkmcnt(0)
	global_store_dwordx4 v[38:39], v[34:37], off
.LBB23_13:                              ;   in Loop: Header=BB23_3 Depth=1
	s_or_b64 exec, exec, s[18:19]
	s_nop 0
	v_lshl_add_u64 v[34:35], v[24:25], 0, 16
	v_cmp_gt_i64_e32 vcc, s[10:11], v[34:35]
	s_and_saveexec_b64 s[18:19], vcc
	s_cbranch_execz .LBB23_15
; %bb.14:                               ;   in Loop: Header=BB23_3 Depth=1
	ds_read2_b64 v[34:37], v32 offset1:1
	v_lshl_add_u64 v[38:39], v[10:11], 0, v[4:5]
	s_waitcnt lgkmcnt(0)
	global_store_dwordx4 v[38:39], v[34:37], off
.LBB23_15:                              ;   in Loop: Header=BB23_3 Depth=1
	s_or_b64 exec, exec, s[18:19]
	v_lshl_add_u64 v[24:25], v[24:25], 0, 24
	v_cmp_gt_i64_e32 vcc, s[10:11], v[24:25]
	s_and_b64 exec, exec, vcc
	s_cbranch_execz .LBB23_2
; %bb.16:                               ;   in Loop: Header=BB23_3 Depth=1
	ds_read2_b64 v[34:37], v33 offset1:1
	v_lshl_add_u64 v[24:25], v[8:9], 0, v[4:5]
	s_waitcnt lgkmcnt(0)
	global_store_dwordx4 v[24:25], v[34:37], off
	s_branch .LBB23_2
.LBB23_17:                              ;   in Loop: Header=BB23_3 Depth=1
	global_load_dwordx4 v[34:37], v[14:15], off
	s_waitcnt vmcnt(0)
	ds_write2_b64 v26, v[34:35], v[36:37] offset1:1
	s_or_b64 exec, exec, s[16:17]
	s_nor_b64 s[18:19], vcc, s[4:5]
	s_and_saveexec_b64 s[16:17], s[18:19]
	s_cbranch_execz .LBB23_5
.LBB23_18:                              ;   in Loop: Header=BB23_3 Depth=1
	global_load_dwordx4 v[34:37], v[16:17], off
	s_waitcnt vmcnt(0)
	ds_write2_b64 v28, v[34:35], v[36:37] offset1:1
	s_or_b64 exec, exec, s[16:17]
	s_nor_b64 s[18:19], vcc, s[6:7]
	s_and_saveexec_b64 s[16:17], s[18:19]
	s_cbranch_execz .LBB23_6
.LBB23_19:                              ;   in Loop: Header=BB23_3 Depth=1
	global_load_dwordx4 v[34:37], v[18:19], off
	s_waitcnt vmcnt(0)
	ds_write2_b64 v29, v[34:35], v[36:37] offset1:1
	s_or_b64 exec, exec, s[16:17]
	s_nor_b64 s[18:19], vcc, s[8:9]
	s_and_saveexec_b64 s[16:17], s[18:19]
	s_cbranch_execnz .LBB23_7
	s_branch .LBB23_8
.LBB23_20:
	s_endpgm
	.section	.rodata,"a",@progbits
	.p2align	6, 0x0
	.amdhsa_kernel _ZN9rocsparseL27dense_transpose_back_kernelILj32ELj8El21rocsparse_complex_numIdEEEvT1_S3_PKT2_lPS4_l
		.amdhsa_group_segment_fixed_size 16384
		.amdhsa_private_segment_fixed_size 0
		.amdhsa_kernarg_size 48
		.amdhsa_user_sgpr_count 2
		.amdhsa_user_sgpr_dispatch_ptr 0
		.amdhsa_user_sgpr_queue_ptr 0
		.amdhsa_user_sgpr_kernarg_segment_ptr 1
		.amdhsa_user_sgpr_dispatch_id 0
		.amdhsa_user_sgpr_kernarg_preload_length 0
		.amdhsa_user_sgpr_kernarg_preload_offset 0
		.amdhsa_user_sgpr_private_segment_size 0
		.amdhsa_uses_dynamic_stack 0
		.amdhsa_enable_private_segment 0
		.amdhsa_system_sgpr_workgroup_id_x 1
		.amdhsa_system_sgpr_workgroup_id_y 0
		.amdhsa_system_sgpr_workgroup_id_z 0
		.amdhsa_system_sgpr_workgroup_info 0
		.amdhsa_system_vgpr_workitem_id 0
		.amdhsa_next_free_vgpr 40
		.amdhsa_next_free_sgpr 24
		.amdhsa_accum_offset 40
		.amdhsa_reserve_vcc 1
		.amdhsa_float_round_mode_32 0
		.amdhsa_float_round_mode_16_64 0
		.amdhsa_float_denorm_mode_32 3
		.amdhsa_float_denorm_mode_16_64 3
		.amdhsa_dx10_clamp 1
		.amdhsa_ieee_mode 1
		.amdhsa_fp16_overflow 0
		.amdhsa_tg_split 0
		.amdhsa_exception_fp_ieee_invalid_op 0
		.amdhsa_exception_fp_denorm_src 0
		.amdhsa_exception_fp_ieee_div_zero 0
		.amdhsa_exception_fp_ieee_overflow 0
		.amdhsa_exception_fp_ieee_underflow 0
		.amdhsa_exception_fp_ieee_inexact 0
		.amdhsa_exception_int_div_zero 0
	.end_amdhsa_kernel
	.section	.text._ZN9rocsparseL27dense_transpose_back_kernelILj32ELj8El21rocsparse_complex_numIdEEEvT1_S3_PKT2_lPS4_l,"axG",@progbits,_ZN9rocsparseL27dense_transpose_back_kernelILj32ELj8El21rocsparse_complex_numIdEEEvT1_S3_PKT2_lPS4_l,comdat
.Lfunc_end23:
	.size	_ZN9rocsparseL27dense_transpose_back_kernelILj32ELj8El21rocsparse_complex_numIdEEEvT1_S3_PKT2_lPS4_l, .Lfunc_end23-_ZN9rocsparseL27dense_transpose_back_kernelILj32ELj8El21rocsparse_complex_numIdEEEvT1_S3_PKT2_lPS4_l
                                        ; -- End function
	.set _ZN9rocsparseL27dense_transpose_back_kernelILj32ELj8El21rocsparse_complex_numIdEEEvT1_S3_PKT2_lPS4_l.num_vgpr, 40
	.set _ZN9rocsparseL27dense_transpose_back_kernelILj32ELj8El21rocsparse_complex_numIdEEEvT1_S3_PKT2_lPS4_l.num_agpr, 0
	.set _ZN9rocsparseL27dense_transpose_back_kernelILj32ELj8El21rocsparse_complex_numIdEEEvT1_S3_PKT2_lPS4_l.numbered_sgpr, 24
	.set _ZN9rocsparseL27dense_transpose_back_kernelILj32ELj8El21rocsparse_complex_numIdEEEvT1_S3_PKT2_lPS4_l.num_named_barrier, 0
	.set _ZN9rocsparseL27dense_transpose_back_kernelILj32ELj8El21rocsparse_complex_numIdEEEvT1_S3_PKT2_lPS4_l.private_seg_size, 0
	.set _ZN9rocsparseL27dense_transpose_back_kernelILj32ELj8El21rocsparse_complex_numIdEEEvT1_S3_PKT2_lPS4_l.uses_vcc, 1
	.set _ZN9rocsparseL27dense_transpose_back_kernelILj32ELj8El21rocsparse_complex_numIdEEEvT1_S3_PKT2_lPS4_l.uses_flat_scratch, 0
	.set _ZN9rocsparseL27dense_transpose_back_kernelILj32ELj8El21rocsparse_complex_numIdEEEvT1_S3_PKT2_lPS4_l.has_dyn_sized_stack, 0
	.set _ZN9rocsparseL27dense_transpose_back_kernelILj32ELj8El21rocsparse_complex_numIdEEEvT1_S3_PKT2_lPS4_l.has_recursion, 0
	.set _ZN9rocsparseL27dense_transpose_back_kernelILj32ELj8El21rocsparse_complex_numIdEEEvT1_S3_PKT2_lPS4_l.has_indirect_call, 0
	.section	.AMDGPU.csdata,"",@progbits
; Kernel info:
; codeLenInByte = 1080
; TotalNumSgprs: 30
; NumVgprs: 40
; NumAgprs: 0
; TotalNumVgprs: 40
; ScratchSize: 0
; MemoryBound: 0
; FloatMode: 240
; IeeeMode: 1
; LDSByteSize: 16384 bytes/workgroup (compile time only)
; SGPRBlocks: 3
; VGPRBlocks: 4
; NumSGPRsForWavesPerEU: 30
; NumVGPRsForWavesPerEU: 40
; AccumOffset: 40
; Occupancy: 8
; WaveLimiterHint : 0
; COMPUTE_PGM_RSRC2:SCRATCH_EN: 0
; COMPUTE_PGM_RSRC2:USER_SGPR: 2
; COMPUTE_PGM_RSRC2:TRAP_HANDLER: 0
; COMPUTE_PGM_RSRC2:TGID_X_EN: 1
; COMPUTE_PGM_RSRC2:TGID_Y_EN: 0
; COMPUTE_PGM_RSRC2:TGID_Z_EN: 0
; COMPUTE_PGM_RSRC2:TIDIG_COMP_CNT: 0
; COMPUTE_PGM_RSRC3_GFX90A:ACCUM_OFFSET: 9
; COMPUTE_PGM_RSRC3_GFX90A:TG_SPLIT: 0
	.section	.text._ZN9rocsparseL16conjugate_kernelILj256EifEEvT0_PT1_,"axG",@progbits,_ZN9rocsparseL16conjugate_kernelILj256EifEEvT0_PT1_,comdat
	.globl	_ZN9rocsparseL16conjugate_kernelILj256EifEEvT0_PT1_ ; -- Begin function _ZN9rocsparseL16conjugate_kernelILj256EifEEvT0_PT1_
	.p2align	8
	.type	_ZN9rocsparseL16conjugate_kernelILj256EifEEvT0_PT1_,@function
_ZN9rocsparseL16conjugate_kernelILj256EifEEvT0_PT1_: ; @_ZN9rocsparseL16conjugate_kernelILj256EifEEvT0_PT1_
; %bb.0:
	s_endpgm
	.section	.rodata,"a",@progbits
	.p2align	6, 0x0
	.amdhsa_kernel _ZN9rocsparseL16conjugate_kernelILj256EifEEvT0_PT1_
		.amdhsa_group_segment_fixed_size 0
		.amdhsa_private_segment_fixed_size 0
		.amdhsa_kernarg_size 16
		.amdhsa_user_sgpr_count 2
		.amdhsa_user_sgpr_dispatch_ptr 0
		.amdhsa_user_sgpr_queue_ptr 0
		.amdhsa_user_sgpr_kernarg_segment_ptr 1
		.amdhsa_user_sgpr_dispatch_id 0
		.amdhsa_user_sgpr_kernarg_preload_length 0
		.amdhsa_user_sgpr_kernarg_preload_offset 0
		.amdhsa_user_sgpr_private_segment_size 0
		.amdhsa_uses_dynamic_stack 0
		.amdhsa_enable_private_segment 0
		.amdhsa_system_sgpr_workgroup_id_x 1
		.amdhsa_system_sgpr_workgroup_id_y 0
		.amdhsa_system_sgpr_workgroup_id_z 0
		.amdhsa_system_sgpr_workgroup_info 0
		.amdhsa_system_vgpr_workitem_id 0
		.amdhsa_next_free_vgpr 1
		.amdhsa_next_free_sgpr 0
		.amdhsa_accum_offset 4
		.amdhsa_reserve_vcc 0
		.amdhsa_float_round_mode_32 0
		.amdhsa_float_round_mode_16_64 0
		.amdhsa_float_denorm_mode_32 3
		.amdhsa_float_denorm_mode_16_64 3
		.amdhsa_dx10_clamp 1
		.amdhsa_ieee_mode 1
		.amdhsa_fp16_overflow 0
		.amdhsa_tg_split 0
		.amdhsa_exception_fp_ieee_invalid_op 0
		.amdhsa_exception_fp_denorm_src 0
		.amdhsa_exception_fp_ieee_div_zero 0
		.amdhsa_exception_fp_ieee_overflow 0
		.amdhsa_exception_fp_ieee_underflow 0
		.amdhsa_exception_fp_ieee_inexact 0
		.amdhsa_exception_int_div_zero 0
	.end_amdhsa_kernel
	.section	.text._ZN9rocsparseL16conjugate_kernelILj256EifEEvT0_PT1_,"axG",@progbits,_ZN9rocsparseL16conjugate_kernelILj256EifEEvT0_PT1_,comdat
.Lfunc_end24:
	.size	_ZN9rocsparseL16conjugate_kernelILj256EifEEvT0_PT1_, .Lfunc_end24-_ZN9rocsparseL16conjugate_kernelILj256EifEEvT0_PT1_
                                        ; -- End function
	.set _ZN9rocsparseL16conjugate_kernelILj256EifEEvT0_PT1_.num_vgpr, 0
	.set _ZN9rocsparseL16conjugate_kernelILj256EifEEvT0_PT1_.num_agpr, 0
	.set _ZN9rocsparseL16conjugate_kernelILj256EifEEvT0_PT1_.numbered_sgpr, 0
	.set _ZN9rocsparseL16conjugate_kernelILj256EifEEvT0_PT1_.num_named_barrier, 0
	.set _ZN9rocsparseL16conjugate_kernelILj256EifEEvT0_PT1_.private_seg_size, 0
	.set _ZN9rocsparseL16conjugate_kernelILj256EifEEvT0_PT1_.uses_vcc, 0
	.set _ZN9rocsparseL16conjugate_kernelILj256EifEEvT0_PT1_.uses_flat_scratch, 0
	.set _ZN9rocsparseL16conjugate_kernelILj256EifEEvT0_PT1_.has_dyn_sized_stack, 0
	.set _ZN9rocsparseL16conjugate_kernelILj256EifEEvT0_PT1_.has_recursion, 0
	.set _ZN9rocsparseL16conjugate_kernelILj256EifEEvT0_PT1_.has_indirect_call, 0
	.section	.AMDGPU.csdata,"",@progbits
; Kernel info:
; codeLenInByte = 4
; TotalNumSgprs: 6
; NumVgprs: 0
; NumAgprs: 0
; TotalNumVgprs: 0
; ScratchSize: 0
; MemoryBound: 0
; FloatMode: 240
; IeeeMode: 1
; LDSByteSize: 0 bytes/workgroup (compile time only)
; SGPRBlocks: 0
; VGPRBlocks: 0
; NumSGPRsForWavesPerEU: 6
; NumVGPRsForWavesPerEU: 1
; AccumOffset: 4
; Occupancy: 8
; WaveLimiterHint : 0
; COMPUTE_PGM_RSRC2:SCRATCH_EN: 0
; COMPUTE_PGM_RSRC2:USER_SGPR: 2
; COMPUTE_PGM_RSRC2:TRAP_HANDLER: 0
; COMPUTE_PGM_RSRC2:TGID_X_EN: 1
; COMPUTE_PGM_RSRC2:TGID_Y_EN: 0
; COMPUTE_PGM_RSRC2:TGID_Z_EN: 0
; COMPUTE_PGM_RSRC2:TIDIG_COMP_CNT: 0
; COMPUTE_PGM_RSRC3_GFX90A:ACCUM_OFFSET: 0
; COMPUTE_PGM_RSRC3_GFX90A:TG_SPLIT: 0
	.section	.text._ZN9rocsparseL16conjugate_kernelILj256EidEEvT0_PT1_,"axG",@progbits,_ZN9rocsparseL16conjugate_kernelILj256EidEEvT0_PT1_,comdat
	.globl	_ZN9rocsparseL16conjugate_kernelILj256EidEEvT0_PT1_ ; -- Begin function _ZN9rocsparseL16conjugate_kernelILj256EidEEvT0_PT1_
	.p2align	8
	.type	_ZN9rocsparseL16conjugate_kernelILj256EidEEvT0_PT1_,@function
_ZN9rocsparseL16conjugate_kernelILj256EidEEvT0_PT1_: ; @_ZN9rocsparseL16conjugate_kernelILj256EidEEvT0_PT1_
; %bb.0:
	s_endpgm
	.section	.rodata,"a",@progbits
	.p2align	6, 0x0
	.amdhsa_kernel _ZN9rocsparseL16conjugate_kernelILj256EidEEvT0_PT1_
		.amdhsa_group_segment_fixed_size 0
		.amdhsa_private_segment_fixed_size 0
		.amdhsa_kernarg_size 16
		.amdhsa_user_sgpr_count 2
		.amdhsa_user_sgpr_dispatch_ptr 0
		.amdhsa_user_sgpr_queue_ptr 0
		.amdhsa_user_sgpr_kernarg_segment_ptr 1
		.amdhsa_user_sgpr_dispatch_id 0
		.amdhsa_user_sgpr_kernarg_preload_length 0
		.amdhsa_user_sgpr_kernarg_preload_offset 0
		.amdhsa_user_sgpr_private_segment_size 0
		.amdhsa_uses_dynamic_stack 0
		.amdhsa_enable_private_segment 0
		.amdhsa_system_sgpr_workgroup_id_x 1
		.amdhsa_system_sgpr_workgroup_id_y 0
		.amdhsa_system_sgpr_workgroup_id_z 0
		.amdhsa_system_sgpr_workgroup_info 0
		.amdhsa_system_vgpr_workitem_id 0
		.amdhsa_next_free_vgpr 1
		.amdhsa_next_free_sgpr 0
		.amdhsa_accum_offset 4
		.amdhsa_reserve_vcc 0
		.amdhsa_float_round_mode_32 0
		.amdhsa_float_round_mode_16_64 0
		.amdhsa_float_denorm_mode_32 3
		.amdhsa_float_denorm_mode_16_64 3
		.amdhsa_dx10_clamp 1
		.amdhsa_ieee_mode 1
		.amdhsa_fp16_overflow 0
		.amdhsa_tg_split 0
		.amdhsa_exception_fp_ieee_invalid_op 0
		.amdhsa_exception_fp_denorm_src 0
		.amdhsa_exception_fp_ieee_div_zero 0
		.amdhsa_exception_fp_ieee_overflow 0
		.amdhsa_exception_fp_ieee_underflow 0
		.amdhsa_exception_fp_ieee_inexact 0
		.amdhsa_exception_int_div_zero 0
	.end_amdhsa_kernel
	.section	.text._ZN9rocsparseL16conjugate_kernelILj256EidEEvT0_PT1_,"axG",@progbits,_ZN9rocsparseL16conjugate_kernelILj256EidEEvT0_PT1_,comdat
.Lfunc_end25:
	.size	_ZN9rocsparseL16conjugate_kernelILj256EidEEvT0_PT1_, .Lfunc_end25-_ZN9rocsparseL16conjugate_kernelILj256EidEEvT0_PT1_
                                        ; -- End function
	.set _ZN9rocsparseL16conjugate_kernelILj256EidEEvT0_PT1_.num_vgpr, 0
	.set _ZN9rocsparseL16conjugate_kernelILj256EidEEvT0_PT1_.num_agpr, 0
	.set _ZN9rocsparseL16conjugate_kernelILj256EidEEvT0_PT1_.numbered_sgpr, 0
	.set _ZN9rocsparseL16conjugate_kernelILj256EidEEvT0_PT1_.num_named_barrier, 0
	.set _ZN9rocsparseL16conjugate_kernelILj256EidEEvT0_PT1_.private_seg_size, 0
	.set _ZN9rocsparseL16conjugate_kernelILj256EidEEvT0_PT1_.uses_vcc, 0
	.set _ZN9rocsparseL16conjugate_kernelILj256EidEEvT0_PT1_.uses_flat_scratch, 0
	.set _ZN9rocsparseL16conjugate_kernelILj256EidEEvT0_PT1_.has_dyn_sized_stack, 0
	.set _ZN9rocsparseL16conjugate_kernelILj256EidEEvT0_PT1_.has_recursion, 0
	.set _ZN9rocsparseL16conjugate_kernelILj256EidEEvT0_PT1_.has_indirect_call, 0
	.section	.AMDGPU.csdata,"",@progbits
; Kernel info:
; codeLenInByte = 4
; TotalNumSgprs: 6
; NumVgprs: 0
; NumAgprs: 0
; TotalNumVgprs: 0
; ScratchSize: 0
; MemoryBound: 0
; FloatMode: 240
; IeeeMode: 1
; LDSByteSize: 0 bytes/workgroup (compile time only)
; SGPRBlocks: 0
; VGPRBlocks: 0
; NumSGPRsForWavesPerEU: 6
; NumVGPRsForWavesPerEU: 1
; AccumOffset: 4
; Occupancy: 8
; WaveLimiterHint : 0
; COMPUTE_PGM_RSRC2:SCRATCH_EN: 0
; COMPUTE_PGM_RSRC2:USER_SGPR: 2
; COMPUTE_PGM_RSRC2:TRAP_HANDLER: 0
; COMPUTE_PGM_RSRC2:TGID_X_EN: 1
; COMPUTE_PGM_RSRC2:TGID_Y_EN: 0
; COMPUTE_PGM_RSRC2:TGID_Z_EN: 0
; COMPUTE_PGM_RSRC2:TIDIG_COMP_CNT: 0
; COMPUTE_PGM_RSRC3_GFX90A:ACCUM_OFFSET: 0
; COMPUTE_PGM_RSRC3_GFX90A:TG_SPLIT: 0
	.section	.text._ZN9rocsparseL16conjugate_kernelILj256Ei21rocsparse_complex_numIfEEEvT0_PT1_,"axG",@progbits,_ZN9rocsparseL16conjugate_kernelILj256Ei21rocsparse_complex_numIfEEEvT0_PT1_,comdat
	.globl	_ZN9rocsparseL16conjugate_kernelILj256Ei21rocsparse_complex_numIfEEEvT0_PT1_ ; -- Begin function _ZN9rocsparseL16conjugate_kernelILj256Ei21rocsparse_complex_numIfEEEvT0_PT1_
	.p2align	8
	.type	_ZN9rocsparseL16conjugate_kernelILj256Ei21rocsparse_complex_numIfEEEvT0_PT1_,@function
_ZN9rocsparseL16conjugate_kernelILj256Ei21rocsparse_complex_numIfEEEvT0_PT1_: ; @_ZN9rocsparseL16conjugate_kernelILj256Ei21rocsparse_complex_numIfEEEvT0_PT1_
; %bb.0:
	s_load_dword s3, s[0:1], 0x0
	v_lshl_or_b32 v0, s2, 8, v0
	s_waitcnt lgkmcnt(0)
	v_cmp_gt_i32_e32 vcc, s3, v0
	s_and_saveexec_b64 s[2:3], vcc
	s_cbranch_execz .LBB26_2
; %bb.1:
	s_load_dwordx2 s[0:1], s[0:1], 0x8
	v_ashrrev_i32_e32 v1, 31, v0
	s_waitcnt lgkmcnt(0)
	v_lshl_add_u64 v[0:1], v[0:1], 3, s[0:1]
	global_load_dword v2, v[0:1], off offset:4
	s_waitcnt vmcnt(0)
	v_xor_b32_e32 v2, 0x80000000, v2
	global_store_dword v[0:1], v2, off offset:4
.LBB26_2:
	s_endpgm
	.section	.rodata,"a",@progbits
	.p2align	6, 0x0
	.amdhsa_kernel _ZN9rocsparseL16conjugate_kernelILj256Ei21rocsparse_complex_numIfEEEvT0_PT1_
		.amdhsa_group_segment_fixed_size 0
		.amdhsa_private_segment_fixed_size 0
		.amdhsa_kernarg_size 16
		.amdhsa_user_sgpr_count 2
		.amdhsa_user_sgpr_dispatch_ptr 0
		.amdhsa_user_sgpr_queue_ptr 0
		.amdhsa_user_sgpr_kernarg_segment_ptr 1
		.amdhsa_user_sgpr_dispatch_id 0
		.amdhsa_user_sgpr_kernarg_preload_length 0
		.amdhsa_user_sgpr_kernarg_preload_offset 0
		.amdhsa_user_sgpr_private_segment_size 0
		.amdhsa_uses_dynamic_stack 0
		.amdhsa_enable_private_segment 0
		.amdhsa_system_sgpr_workgroup_id_x 1
		.amdhsa_system_sgpr_workgroup_id_y 0
		.amdhsa_system_sgpr_workgroup_id_z 0
		.amdhsa_system_sgpr_workgroup_info 0
		.amdhsa_system_vgpr_workitem_id 0
		.amdhsa_next_free_vgpr 3
		.amdhsa_next_free_sgpr 4
		.amdhsa_accum_offset 4
		.amdhsa_reserve_vcc 1
		.amdhsa_float_round_mode_32 0
		.amdhsa_float_round_mode_16_64 0
		.amdhsa_float_denorm_mode_32 3
		.amdhsa_float_denorm_mode_16_64 3
		.amdhsa_dx10_clamp 1
		.amdhsa_ieee_mode 1
		.amdhsa_fp16_overflow 0
		.amdhsa_tg_split 0
		.amdhsa_exception_fp_ieee_invalid_op 0
		.amdhsa_exception_fp_denorm_src 0
		.amdhsa_exception_fp_ieee_div_zero 0
		.amdhsa_exception_fp_ieee_overflow 0
		.amdhsa_exception_fp_ieee_underflow 0
		.amdhsa_exception_fp_ieee_inexact 0
		.amdhsa_exception_int_div_zero 0
	.end_amdhsa_kernel
	.section	.text._ZN9rocsparseL16conjugate_kernelILj256Ei21rocsparse_complex_numIfEEEvT0_PT1_,"axG",@progbits,_ZN9rocsparseL16conjugate_kernelILj256Ei21rocsparse_complex_numIfEEEvT0_PT1_,comdat
.Lfunc_end26:
	.size	_ZN9rocsparseL16conjugate_kernelILj256Ei21rocsparse_complex_numIfEEEvT0_PT1_, .Lfunc_end26-_ZN9rocsparseL16conjugate_kernelILj256Ei21rocsparse_complex_numIfEEEvT0_PT1_
                                        ; -- End function
	.set _ZN9rocsparseL16conjugate_kernelILj256Ei21rocsparse_complex_numIfEEEvT0_PT1_.num_vgpr, 3
	.set _ZN9rocsparseL16conjugate_kernelILj256Ei21rocsparse_complex_numIfEEEvT0_PT1_.num_agpr, 0
	.set _ZN9rocsparseL16conjugate_kernelILj256Ei21rocsparse_complex_numIfEEEvT0_PT1_.numbered_sgpr, 4
	.set _ZN9rocsparseL16conjugate_kernelILj256Ei21rocsparse_complex_numIfEEEvT0_PT1_.num_named_barrier, 0
	.set _ZN9rocsparseL16conjugate_kernelILj256Ei21rocsparse_complex_numIfEEEvT0_PT1_.private_seg_size, 0
	.set _ZN9rocsparseL16conjugate_kernelILj256Ei21rocsparse_complex_numIfEEEvT0_PT1_.uses_vcc, 1
	.set _ZN9rocsparseL16conjugate_kernelILj256Ei21rocsparse_complex_numIfEEEvT0_PT1_.uses_flat_scratch, 0
	.set _ZN9rocsparseL16conjugate_kernelILj256Ei21rocsparse_complex_numIfEEEvT0_PT1_.has_dyn_sized_stack, 0
	.set _ZN9rocsparseL16conjugate_kernelILj256Ei21rocsparse_complex_numIfEEEvT0_PT1_.has_recursion, 0
	.set _ZN9rocsparseL16conjugate_kernelILj256Ei21rocsparse_complex_numIfEEEvT0_PT1_.has_indirect_call, 0
	.section	.AMDGPU.csdata,"",@progbits
; Kernel info:
; codeLenInByte = 88
; TotalNumSgprs: 10
; NumVgprs: 3
; NumAgprs: 0
; TotalNumVgprs: 3
; ScratchSize: 0
; MemoryBound: 0
; FloatMode: 240
; IeeeMode: 1
; LDSByteSize: 0 bytes/workgroup (compile time only)
; SGPRBlocks: 1
; VGPRBlocks: 0
; NumSGPRsForWavesPerEU: 10
; NumVGPRsForWavesPerEU: 3
; AccumOffset: 4
; Occupancy: 8
; WaveLimiterHint : 0
; COMPUTE_PGM_RSRC2:SCRATCH_EN: 0
; COMPUTE_PGM_RSRC2:USER_SGPR: 2
; COMPUTE_PGM_RSRC2:TRAP_HANDLER: 0
; COMPUTE_PGM_RSRC2:TGID_X_EN: 1
; COMPUTE_PGM_RSRC2:TGID_Y_EN: 0
; COMPUTE_PGM_RSRC2:TGID_Z_EN: 0
; COMPUTE_PGM_RSRC2:TIDIG_COMP_CNT: 0
; COMPUTE_PGM_RSRC3_GFX90A:ACCUM_OFFSET: 0
; COMPUTE_PGM_RSRC3_GFX90A:TG_SPLIT: 0
	.section	.text._ZN9rocsparseL16conjugate_kernelILj256Ei21rocsparse_complex_numIdEEEvT0_PT1_,"axG",@progbits,_ZN9rocsparseL16conjugate_kernelILj256Ei21rocsparse_complex_numIdEEEvT0_PT1_,comdat
	.globl	_ZN9rocsparseL16conjugate_kernelILj256Ei21rocsparse_complex_numIdEEEvT0_PT1_ ; -- Begin function _ZN9rocsparseL16conjugate_kernelILj256Ei21rocsparse_complex_numIdEEEvT0_PT1_
	.p2align	8
	.type	_ZN9rocsparseL16conjugate_kernelILj256Ei21rocsparse_complex_numIdEEEvT0_PT1_,@function
_ZN9rocsparseL16conjugate_kernelILj256Ei21rocsparse_complex_numIdEEEvT0_PT1_: ; @_ZN9rocsparseL16conjugate_kernelILj256Ei21rocsparse_complex_numIdEEEvT0_PT1_
; %bb.0:
	s_load_dword s3, s[0:1], 0x0
	v_lshl_or_b32 v0, s2, 8, v0
	s_waitcnt lgkmcnt(0)
	v_cmp_gt_i32_e32 vcc, s3, v0
	s_and_saveexec_b64 s[2:3], vcc
	s_cbranch_execz .LBB27_2
; %bb.1:
	s_load_dwordx2 s[0:1], s[0:1], 0x8
	v_ashrrev_i32_e32 v1, 31, v0
	s_waitcnt lgkmcnt(0)
	v_lshl_add_u64 v[0:1], v[0:1], 4, s[0:1]
	global_load_dwordx2 v[2:3], v[0:1], off offset:8
	s_waitcnt vmcnt(0)
	v_xor_b32_e32 v3, 0x80000000, v3
	global_store_dwordx2 v[0:1], v[2:3], off offset:8
.LBB27_2:
	s_endpgm
	.section	.rodata,"a",@progbits
	.p2align	6, 0x0
	.amdhsa_kernel _ZN9rocsparseL16conjugate_kernelILj256Ei21rocsparse_complex_numIdEEEvT0_PT1_
		.amdhsa_group_segment_fixed_size 0
		.amdhsa_private_segment_fixed_size 0
		.amdhsa_kernarg_size 16
		.amdhsa_user_sgpr_count 2
		.amdhsa_user_sgpr_dispatch_ptr 0
		.amdhsa_user_sgpr_queue_ptr 0
		.amdhsa_user_sgpr_kernarg_segment_ptr 1
		.amdhsa_user_sgpr_dispatch_id 0
		.amdhsa_user_sgpr_kernarg_preload_length 0
		.amdhsa_user_sgpr_kernarg_preload_offset 0
		.amdhsa_user_sgpr_private_segment_size 0
		.amdhsa_uses_dynamic_stack 0
		.amdhsa_enable_private_segment 0
		.amdhsa_system_sgpr_workgroup_id_x 1
		.amdhsa_system_sgpr_workgroup_id_y 0
		.amdhsa_system_sgpr_workgroup_id_z 0
		.amdhsa_system_sgpr_workgroup_info 0
		.amdhsa_system_vgpr_workitem_id 0
		.amdhsa_next_free_vgpr 4
		.amdhsa_next_free_sgpr 4
		.amdhsa_accum_offset 4
		.amdhsa_reserve_vcc 1
		.amdhsa_float_round_mode_32 0
		.amdhsa_float_round_mode_16_64 0
		.amdhsa_float_denorm_mode_32 3
		.amdhsa_float_denorm_mode_16_64 3
		.amdhsa_dx10_clamp 1
		.amdhsa_ieee_mode 1
		.amdhsa_fp16_overflow 0
		.amdhsa_tg_split 0
		.amdhsa_exception_fp_ieee_invalid_op 0
		.amdhsa_exception_fp_denorm_src 0
		.amdhsa_exception_fp_ieee_div_zero 0
		.amdhsa_exception_fp_ieee_overflow 0
		.amdhsa_exception_fp_ieee_underflow 0
		.amdhsa_exception_fp_ieee_inexact 0
		.amdhsa_exception_int_div_zero 0
	.end_amdhsa_kernel
	.section	.text._ZN9rocsparseL16conjugate_kernelILj256Ei21rocsparse_complex_numIdEEEvT0_PT1_,"axG",@progbits,_ZN9rocsparseL16conjugate_kernelILj256Ei21rocsparse_complex_numIdEEEvT0_PT1_,comdat
.Lfunc_end27:
	.size	_ZN9rocsparseL16conjugate_kernelILj256Ei21rocsparse_complex_numIdEEEvT0_PT1_, .Lfunc_end27-_ZN9rocsparseL16conjugate_kernelILj256Ei21rocsparse_complex_numIdEEEvT0_PT1_
                                        ; -- End function
	.set _ZN9rocsparseL16conjugate_kernelILj256Ei21rocsparse_complex_numIdEEEvT0_PT1_.num_vgpr, 4
	.set _ZN9rocsparseL16conjugate_kernelILj256Ei21rocsparse_complex_numIdEEEvT0_PT1_.num_agpr, 0
	.set _ZN9rocsparseL16conjugate_kernelILj256Ei21rocsparse_complex_numIdEEEvT0_PT1_.numbered_sgpr, 4
	.set _ZN9rocsparseL16conjugate_kernelILj256Ei21rocsparse_complex_numIdEEEvT0_PT1_.num_named_barrier, 0
	.set _ZN9rocsparseL16conjugate_kernelILj256Ei21rocsparse_complex_numIdEEEvT0_PT1_.private_seg_size, 0
	.set _ZN9rocsparseL16conjugate_kernelILj256Ei21rocsparse_complex_numIdEEEvT0_PT1_.uses_vcc, 1
	.set _ZN9rocsparseL16conjugate_kernelILj256Ei21rocsparse_complex_numIdEEEvT0_PT1_.uses_flat_scratch, 0
	.set _ZN9rocsparseL16conjugate_kernelILj256Ei21rocsparse_complex_numIdEEEvT0_PT1_.has_dyn_sized_stack, 0
	.set _ZN9rocsparseL16conjugate_kernelILj256Ei21rocsparse_complex_numIdEEEvT0_PT1_.has_recursion, 0
	.set _ZN9rocsparseL16conjugate_kernelILj256Ei21rocsparse_complex_numIdEEEvT0_PT1_.has_indirect_call, 0
	.section	.AMDGPU.csdata,"",@progbits
; Kernel info:
; codeLenInByte = 88
; TotalNumSgprs: 10
; NumVgprs: 4
; NumAgprs: 0
; TotalNumVgprs: 4
; ScratchSize: 0
; MemoryBound: 0
; FloatMode: 240
; IeeeMode: 1
; LDSByteSize: 0 bytes/workgroup (compile time only)
; SGPRBlocks: 1
; VGPRBlocks: 0
; NumSGPRsForWavesPerEU: 10
; NumVGPRsForWavesPerEU: 4
; AccumOffset: 4
; Occupancy: 8
; WaveLimiterHint : 0
; COMPUTE_PGM_RSRC2:SCRATCH_EN: 0
; COMPUTE_PGM_RSRC2:USER_SGPR: 2
; COMPUTE_PGM_RSRC2:TRAP_HANDLER: 0
; COMPUTE_PGM_RSRC2:TGID_X_EN: 1
; COMPUTE_PGM_RSRC2:TGID_Y_EN: 0
; COMPUTE_PGM_RSRC2:TGID_Z_EN: 0
; COMPUTE_PGM_RSRC2:TIDIG_COMP_CNT: 0
; COMPUTE_PGM_RSRC3_GFX90A:ACCUM_OFFSET: 0
; COMPUTE_PGM_RSRC3_GFX90A:TG_SPLIT: 0
	.section	.text._ZN9rocsparseL16conjugate_kernelILj256ElfEEvT0_PT1_,"axG",@progbits,_ZN9rocsparseL16conjugate_kernelILj256ElfEEvT0_PT1_,comdat
	.globl	_ZN9rocsparseL16conjugate_kernelILj256ElfEEvT0_PT1_ ; -- Begin function _ZN9rocsparseL16conjugate_kernelILj256ElfEEvT0_PT1_
	.p2align	8
	.type	_ZN9rocsparseL16conjugate_kernelILj256ElfEEvT0_PT1_,@function
_ZN9rocsparseL16conjugate_kernelILj256ElfEEvT0_PT1_: ; @_ZN9rocsparseL16conjugate_kernelILj256ElfEEvT0_PT1_
; %bb.0:
	s_endpgm
	.section	.rodata,"a",@progbits
	.p2align	6, 0x0
	.amdhsa_kernel _ZN9rocsparseL16conjugate_kernelILj256ElfEEvT0_PT1_
		.amdhsa_group_segment_fixed_size 0
		.amdhsa_private_segment_fixed_size 0
		.amdhsa_kernarg_size 16
		.amdhsa_user_sgpr_count 2
		.amdhsa_user_sgpr_dispatch_ptr 0
		.amdhsa_user_sgpr_queue_ptr 0
		.amdhsa_user_sgpr_kernarg_segment_ptr 1
		.amdhsa_user_sgpr_dispatch_id 0
		.amdhsa_user_sgpr_kernarg_preload_length 0
		.amdhsa_user_sgpr_kernarg_preload_offset 0
		.amdhsa_user_sgpr_private_segment_size 0
		.amdhsa_uses_dynamic_stack 0
		.amdhsa_enable_private_segment 0
		.amdhsa_system_sgpr_workgroup_id_x 1
		.amdhsa_system_sgpr_workgroup_id_y 0
		.amdhsa_system_sgpr_workgroup_id_z 0
		.amdhsa_system_sgpr_workgroup_info 0
		.amdhsa_system_vgpr_workitem_id 0
		.amdhsa_next_free_vgpr 1
		.amdhsa_next_free_sgpr 0
		.amdhsa_accum_offset 4
		.amdhsa_reserve_vcc 0
		.amdhsa_float_round_mode_32 0
		.amdhsa_float_round_mode_16_64 0
		.amdhsa_float_denorm_mode_32 3
		.amdhsa_float_denorm_mode_16_64 3
		.amdhsa_dx10_clamp 1
		.amdhsa_ieee_mode 1
		.amdhsa_fp16_overflow 0
		.amdhsa_tg_split 0
		.amdhsa_exception_fp_ieee_invalid_op 0
		.amdhsa_exception_fp_denorm_src 0
		.amdhsa_exception_fp_ieee_div_zero 0
		.amdhsa_exception_fp_ieee_overflow 0
		.amdhsa_exception_fp_ieee_underflow 0
		.amdhsa_exception_fp_ieee_inexact 0
		.amdhsa_exception_int_div_zero 0
	.end_amdhsa_kernel
	.section	.text._ZN9rocsparseL16conjugate_kernelILj256ElfEEvT0_PT1_,"axG",@progbits,_ZN9rocsparseL16conjugate_kernelILj256ElfEEvT0_PT1_,comdat
.Lfunc_end28:
	.size	_ZN9rocsparseL16conjugate_kernelILj256ElfEEvT0_PT1_, .Lfunc_end28-_ZN9rocsparseL16conjugate_kernelILj256ElfEEvT0_PT1_
                                        ; -- End function
	.set _ZN9rocsparseL16conjugate_kernelILj256ElfEEvT0_PT1_.num_vgpr, 0
	.set _ZN9rocsparseL16conjugate_kernelILj256ElfEEvT0_PT1_.num_agpr, 0
	.set _ZN9rocsparseL16conjugate_kernelILj256ElfEEvT0_PT1_.numbered_sgpr, 0
	.set _ZN9rocsparseL16conjugate_kernelILj256ElfEEvT0_PT1_.num_named_barrier, 0
	.set _ZN9rocsparseL16conjugate_kernelILj256ElfEEvT0_PT1_.private_seg_size, 0
	.set _ZN9rocsparseL16conjugate_kernelILj256ElfEEvT0_PT1_.uses_vcc, 0
	.set _ZN9rocsparseL16conjugate_kernelILj256ElfEEvT0_PT1_.uses_flat_scratch, 0
	.set _ZN9rocsparseL16conjugate_kernelILj256ElfEEvT0_PT1_.has_dyn_sized_stack, 0
	.set _ZN9rocsparseL16conjugate_kernelILj256ElfEEvT0_PT1_.has_recursion, 0
	.set _ZN9rocsparseL16conjugate_kernelILj256ElfEEvT0_PT1_.has_indirect_call, 0
	.section	.AMDGPU.csdata,"",@progbits
; Kernel info:
; codeLenInByte = 4
; TotalNumSgprs: 6
; NumVgprs: 0
; NumAgprs: 0
; TotalNumVgprs: 0
; ScratchSize: 0
; MemoryBound: 0
; FloatMode: 240
; IeeeMode: 1
; LDSByteSize: 0 bytes/workgroup (compile time only)
; SGPRBlocks: 0
; VGPRBlocks: 0
; NumSGPRsForWavesPerEU: 6
; NumVGPRsForWavesPerEU: 1
; AccumOffset: 4
; Occupancy: 8
; WaveLimiterHint : 0
; COMPUTE_PGM_RSRC2:SCRATCH_EN: 0
; COMPUTE_PGM_RSRC2:USER_SGPR: 2
; COMPUTE_PGM_RSRC2:TRAP_HANDLER: 0
; COMPUTE_PGM_RSRC2:TGID_X_EN: 1
; COMPUTE_PGM_RSRC2:TGID_Y_EN: 0
; COMPUTE_PGM_RSRC2:TGID_Z_EN: 0
; COMPUTE_PGM_RSRC2:TIDIG_COMP_CNT: 0
; COMPUTE_PGM_RSRC3_GFX90A:ACCUM_OFFSET: 0
; COMPUTE_PGM_RSRC3_GFX90A:TG_SPLIT: 0
	.section	.text._ZN9rocsparseL16conjugate_kernelILj256EldEEvT0_PT1_,"axG",@progbits,_ZN9rocsparseL16conjugate_kernelILj256EldEEvT0_PT1_,comdat
	.globl	_ZN9rocsparseL16conjugate_kernelILj256EldEEvT0_PT1_ ; -- Begin function _ZN9rocsparseL16conjugate_kernelILj256EldEEvT0_PT1_
	.p2align	8
	.type	_ZN9rocsparseL16conjugate_kernelILj256EldEEvT0_PT1_,@function
_ZN9rocsparseL16conjugate_kernelILj256EldEEvT0_PT1_: ; @_ZN9rocsparseL16conjugate_kernelILj256EldEEvT0_PT1_
; %bb.0:
	s_endpgm
	.section	.rodata,"a",@progbits
	.p2align	6, 0x0
	.amdhsa_kernel _ZN9rocsparseL16conjugate_kernelILj256EldEEvT0_PT1_
		.amdhsa_group_segment_fixed_size 0
		.amdhsa_private_segment_fixed_size 0
		.amdhsa_kernarg_size 16
		.amdhsa_user_sgpr_count 2
		.amdhsa_user_sgpr_dispatch_ptr 0
		.amdhsa_user_sgpr_queue_ptr 0
		.amdhsa_user_sgpr_kernarg_segment_ptr 1
		.amdhsa_user_sgpr_dispatch_id 0
		.amdhsa_user_sgpr_kernarg_preload_length 0
		.amdhsa_user_sgpr_kernarg_preload_offset 0
		.amdhsa_user_sgpr_private_segment_size 0
		.amdhsa_uses_dynamic_stack 0
		.amdhsa_enable_private_segment 0
		.amdhsa_system_sgpr_workgroup_id_x 1
		.amdhsa_system_sgpr_workgroup_id_y 0
		.amdhsa_system_sgpr_workgroup_id_z 0
		.amdhsa_system_sgpr_workgroup_info 0
		.amdhsa_system_vgpr_workitem_id 0
		.amdhsa_next_free_vgpr 1
		.amdhsa_next_free_sgpr 0
		.amdhsa_accum_offset 4
		.amdhsa_reserve_vcc 0
		.amdhsa_float_round_mode_32 0
		.amdhsa_float_round_mode_16_64 0
		.amdhsa_float_denorm_mode_32 3
		.amdhsa_float_denorm_mode_16_64 3
		.amdhsa_dx10_clamp 1
		.amdhsa_ieee_mode 1
		.amdhsa_fp16_overflow 0
		.amdhsa_tg_split 0
		.amdhsa_exception_fp_ieee_invalid_op 0
		.amdhsa_exception_fp_denorm_src 0
		.amdhsa_exception_fp_ieee_div_zero 0
		.amdhsa_exception_fp_ieee_overflow 0
		.amdhsa_exception_fp_ieee_underflow 0
		.amdhsa_exception_fp_ieee_inexact 0
		.amdhsa_exception_int_div_zero 0
	.end_amdhsa_kernel
	.section	.text._ZN9rocsparseL16conjugate_kernelILj256EldEEvT0_PT1_,"axG",@progbits,_ZN9rocsparseL16conjugate_kernelILj256EldEEvT0_PT1_,comdat
.Lfunc_end29:
	.size	_ZN9rocsparseL16conjugate_kernelILj256EldEEvT0_PT1_, .Lfunc_end29-_ZN9rocsparseL16conjugate_kernelILj256EldEEvT0_PT1_
                                        ; -- End function
	.set _ZN9rocsparseL16conjugate_kernelILj256EldEEvT0_PT1_.num_vgpr, 0
	.set _ZN9rocsparseL16conjugate_kernelILj256EldEEvT0_PT1_.num_agpr, 0
	.set _ZN9rocsparseL16conjugate_kernelILj256EldEEvT0_PT1_.numbered_sgpr, 0
	.set _ZN9rocsparseL16conjugate_kernelILj256EldEEvT0_PT1_.num_named_barrier, 0
	.set _ZN9rocsparseL16conjugate_kernelILj256EldEEvT0_PT1_.private_seg_size, 0
	.set _ZN9rocsparseL16conjugate_kernelILj256EldEEvT0_PT1_.uses_vcc, 0
	.set _ZN9rocsparseL16conjugate_kernelILj256EldEEvT0_PT1_.uses_flat_scratch, 0
	.set _ZN9rocsparseL16conjugate_kernelILj256EldEEvT0_PT1_.has_dyn_sized_stack, 0
	.set _ZN9rocsparseL16conjugate_kernelILj256EldEEvT0_PT1_.has_recursion, 0
	.set _ZN9rocsparseL16conjugate_kernelILj256EldEEvT0_PT1_.has_indirect_call, 0
	.section	.AMDGPU.csdata,"",@progbits
; Kernel info:
; codeLenInByte = 4
; TotalNumSgprs: 6
; NumVgprs: 0
; NumAgprs: 0
; TotalNumVgprs: 0
; ScratchSize: 0
; MemoryBound: 0
; FloatMode: 240
; IeeeMode: 1
; LDSByteSize: 0 bytes/workgroup (compile time only)
; SGPRBlocks: 0
; VGPRBlocks: 0
; NumSGPRsForWavesPerEU: 6
; NumVGPRsForWavesPerEU: 1
; AccumOffset: 4
; Occupancy: 8
; WaveLimiterHint : 0
; COMPUTE_PGM_RSRC2:SCRATCH_EN: 0
; COMPUTE_PGM_RSRC2:USER_SGPR: 2
; COMPUTE_PGM_RSRC2:TRAP_HANDLER: 0
; COMPUTE_PGM_RSRC2:TGID_X_EN: 1
; COMPUTE_PGM_RSRC2:TGID_Y_EN: 0
; COMPUTE_PGM_RSRC2:TGID_Z_EN: 0
; COMPUTE_PGM_RSRC2:TIDIG_COMP_CNT: 0
; COMPUTE_PGM_RSRC3_GFX90A:ACCUM_OFFSET: 0
; COMPUTE_PGM_RSRC3_GFX90A:TG_SPLIT: 0
	.section	.text._ZN9rocsparseL16conjugate_kernelILj256El21rocsparse_complex_numIfEEEvT0_PT1_,"axG",@progbits,_ZN9rocsparseL16conjugate_kernelILj256El21rocsparse_complex_numIfEEEvT0_PT1_,comdat
	.globl	_ZN9rocsparseL16conjugate_kernelILj256El21rocsparse_complex_numIfEEEvT0_PT1_ ; -- Begin function _ZN9rocsparseL16conjugate_kernelILj256El21rocsparse_complex_numIfEEEvT0_PT1_
	.p2align	8
	.type	_ZN9rocsparseL16conjugate_kernelILj256El21rocsparse_complex_numIfEEEvT0_PT1_,@function
_ZN9rocsparseL16conjugate_kernelILj256El21rocsparse_complex_numIfEEEvT0_PT1_: ; @_ZN9rocsparseL16conjugate_kernelILj256El21rocsparse_complex_numIfEEEvT0_PT1_
; %bb.0:
	s_load_dwordx4 s[4:7], s[0:1], 0x0
	v_lshl_or_b32 v0, s2, 8, v0
	v_mov_b32_e32 v1, 0
	s_waitcnt lgkmcnt(0)
	v_cmp_gt_i64_e32 vcc, s[4:5], v[0:1]
	s_and_saveexec_b64 s[0:1], vcc
	s_cbranch_execz .LBB30_2
; %bb.1:
	v_mov_b32_e32 v2, s6
	v_mov_b32_e32 v3, s7
	v_lshl_add_u64 v[0:1], v[0:1], 3, v[2:3]
	global_load_dword v2, v[0:1], off offset:4
	s_waitcnt vmcnt(0)
	v_xor_b32_e32 v2, 0x80000000, v2
	global_store_dword v[0:1], v2, off offset:4
.LBB30_2:
	s_endpgm
	.section	.rodata,"a",@progbits
	.p2align	6, 0x0
	.amdhsa_kernel _ZN9rocsparseL16conjugate_kernelILj256El21rocsparse_complex_numIfEEEvT0_PT1_
		.amdhsa_group_segment_fixed_size 0
		.amdhsa_private_segment_fixed_size 0
		.amdhsa_kernarg_size 16
		.amdhsa_user_sgpr_count 2
		.amdhsa_user_sgpr_dispatch_ptr 0
		.amdhsa_user_sgpr_queue_ptr 0
		.amdhsa_user_sgpr_kernarg_segment_ptr 1
		.amdhsa_user_sgpr_dispatch_id 0
		.amdhsa_user_sgpr_kernarg_preload_length 0
		.amdhsa_user_sgpr_kernarg_preload_offset 0
		.amdhsa_user_sgpr_private_segment_size 0
		.amdhsa_uses_dynamic_stack 0
		.amdhsa_enable_private_segment 0
		.amdhsa_system_sgpr_workgroup_id_x 1
		.amdhsa_system_sgpr_workgroup_id_y 0
		.amdhsa_system_sgpr_workgroup_id_z 0
		.amdhsa_system_sgpr_workgroup_info 0
		.amdhsa_system_vgpr_workitem_id 0
		.amdhsa_next_free_vgpr 4
		.amdhsa_next_free_sgpr 8
		.amdhsa_accum_offset 4
		.amdhsa_reserve_vcc 1
		.amdhsa_float_round_mode_32 0
		.amdhsa_float_round_mode_16_64 0
		.amdhsa_float_denorm_mode_32 3
		.amdhsa_float_denorm_mode_16_64 3
		.amdhsa_dx10_clamp 1
		.amdhsa_ieee_mode 1
		.amdhsa_fp16_overflow 0
		.amdhsa_tg_split 0
		.amdhsa_exception_fp_ieee_invalid_op 0
		.amdhsa_exception_fp_denorm_src 0
		.amdhsa_exception_fp_ieee_div_zero 0
		.amdhsa_exception_fp_ieee_overflow 0
		.amdhsa_exception_fp_ieee_underflow 0
		.amdhsa_exception_fp_ieee_inexact 0
		.amdhsa_exception_int_div_zero 0
	.end_amdhsa_kernel
	.section	.text._ZN9rocsparseL16conjugate_kernelILj256El21rocsparse_complex_numIfEEEvT0_PT1_,"axG",@progbits,_ZN9rocsparseL16conjugate_kernelILj256El21rocsparse_complex_numIfEEEvT0_PT1_,comdat
.Lfunc_end30:
	.size	_ZN9rocsparseL16conjugate_kernelILj256El21rocsparse_complex_numIfEEEvT0_PT1_, .Lfunc_end30-_ZN9rocsparseL16conjugate_kernelILj256El21rocsparse_complex_numIfEEEvT0_PT1_
                                        ; -- End function
	.set _ZN9rocsparseL16conjugate_kernelILj256El21rocsparse_complex_numIfEEEvT0_PT1_.num_vgpr, 4
	.set _ZN9rocsparseL16conjugate_kernelILj256El21rocsparse_complex_numIfEEEvT0_PT1_.num_agpr, 0
	.set _ZN9rocsparseL16conjugate_kernelILj256El21rocsparse_complex_numIfEEEvT0_PT1_.numbered_sgpr, 8
	.set _ZN9rocsparseL16conjugate_kernelILj256El21rocsparse_complex_numIfEEEvT0_PT1_.num_named_barrier, 0
	.set _ZN9rocsparseL16conjugate_kernelILj256El21rocsparse_complex_numIfEEEvT0_PT1_.private_seg_size, 0
	.set _ZN9rocsparseL16conjugate_kernelILj256El21rocsparse_complex_numIfEEEvT0_PT1_.uses_vcc, 1
	.set _ZN9rocsparseL16conjugate_kernelILj256El21rocsparse_complex_numIfEEEvT0_PT1_.uses_flat_scratch, 0
	.set _ZN9rocsparseL16conjugate_kernelILj256El21rocsparse_complex_numIfEEEvT0_PT1_.has_dyn_sized_stack, 0
	.set _ZN9rocsparseL16conjugate_kernelILj256El21rocsparse_complex_numIfEEEvT0_PT1_.has_recursion, 0
	.set _ZN9rocsparseL16conjugate_kernelILj256El21rocsparse_complex_numIfEEEvT0_PT1_.has_indirect_call, 0
	.section	.AMDGPU.csdata,"",@progbits
; Kernel info:
; codeLenInByte = 84
; TotalNumSgprs: 14
; NumVgprs: 4
; NumAgprs: 0
; TotalNumVgprs: 4
; ScratchSize: 0
; MemoryBound: 0
; FloatMode: 240
; IeeeMode: 1
; LDSByteSize: 0 bytes/workgroup (compile time only)
; SGPRBlocks: 1
; VGPRBlocks: 0
; NumSGPRsForWavesPerEU: 14
; NumVGPRsForWavesPerEU: 4
; AccumOffset: 4
; Occupancy: 8
; WaveLimiterHint : 0
; COMPUTE_PGM_RSRC2:SCRATCH_EN: 0
; COMPUTE_PGM_RSRC2:USER_SGPR: 2
; COMPUTE_PGM_RSRC2:TRAP_HANDLER: 0
; COMPUTE_PGM_RSRC2:TGID_X_EN: 1
; COMPUTE_PGM_RSRC2:TGID_Y_EN: 0
; COMPUTE_PGM_RSRC2:TGID_Z_EN: 0
; COMPUTE_PGM_RSRC2:TIDIG_COMP_CNT: 0
; COMPUTE_PGM_RSRC3_GFX90A:ACCUM_OFFSET: 0
; COMPUTE_PGM_RSRC3_GFX90A:TG_SPLIT: 0
	.section	.text._ZN9rocsparseL16conjugate_kernelILj256El21rocsparse_complex_numIdEEEvT0_PT1_,"axG",@progbits,_ZN9rocsparseL16conjugate_kernelILj256El21rocsparse_complex_numIdEEEvT0_PT1_,comdat
	.globl	_ZN9rocsparseL16conjugate_kernelILj256El21rocsparse_complex_numIdEEEvT0_PT1_ ; -- Begin function _ZN9rocsparseL16conjugate_kernelILj256El21rocsparse_complex_numIdEEEvT0_PT1_
	.p2align	8
	.type	_ZN9rocsparseL16conjugate_kernelILj256El21rocsparse_complex_numIdEEEvT0_PT1_,@function
_ZN9rocsparseL16conjugate_kernelILj256El21rocsparse_complex_numIdEEEvT0_PT1_: ; @_ZN9rocsparseL16conjugate_kernelILj256El21rocsparse_complex_numIdEEEvT0_PT1_
; %bb.0:
	s_load_dwordx4 s[4:7], s[0:1], 0x0
	v_lshl_or_b32 v0, s2, 8, v0
	v_mov_b32_e32 v1, 0
	s_waitcnt lgkmcnt(0)
	v_cmp_gt_i64_e32 vcc, s[4:5], v[0:1]
	s_and_saveexec_b64 s[0:1], vcc
	s_cbranch_execz .LBB31_2
; %bb.1:
	v_mov_b32_e32 v2, s6
	v_mov_b32_e32 v3, s7
	v_lshl_add_u64 v[0:1], v[0:1], 4, v[2:3]
	global_load_dwordx2 v[2:3], v[0:1], off offset:8
	s_waitcnt vmcnt(0)
	v_xor_b32_e32 v3, 0x80000000, v3
	global_store_dwordx2 v[0:1], v[2:3], off offset:8
.LBB31_2:
	s_endpgm
	.section	.rodata,"a",@progbits
	.p2align	6, 0x0
	.amdhsa_kernel _ZN9rocsparseL16conjugate_kernelILj256El21rocsparse_complex_numIdEEEvT0_PT1_
		.amdhsa_group_segment_fixed_size 0
		.amdhsa_private_segment_fixed_size 0
		.amdhsa_kernarg_size 16
		.amdhsa_user_sgpr_count 2
		.amdhsa_user_sgpr_dispatch_ptr 0
		.amdhsa_user_sgpr_queue_ptr 0
		.amdhsa_user_sgpr_kernarg_segment_ptr 1
		.amdhsa_user_sgpr_dispatch_id 0
		.amdhsa_user_sgpr_kernarg_preload_length 0
		.amdhsa_user_sgpr_kernarg_preload_offset 0
		.amdhsa_user_sgpr_private_segment_size 0
		.amdhsa_uses_dynamic_stack 0
		.amdhsa_enable_private_segment 0
		.amdhsa_system_sgpr_workgroup_id_x 1
		.amdhsa_system_sgpr_workgroup_id_y 0
		.amdhsa_system_sgpr_workgroup_id_z 0
		.amdhsa_system_sgpr_workgroup_info 0
		.amdhsa_system_vgpr_workitem_id 0
		.amdhsa_next_free_vgpr 4
		.amdhsa_next_free_sgpr 8
		.amdhsa_accum_offset 4
		.amdhsa_reserve_vcc 1
		.amdhsa_float_round_mode_32 0
		.amdhsa_float_round_mode_16_64 0
		.amdhsa_float_denorm_mode_32 3
		.amdhsa_float_denorm_mode_16_64 3
		.amdhsa_dx10_clamp 1
		.amdhsa_ieee_mode 1
		.amdhsa_fp16_overflow 0
		.amdhsa_tg_split 0
		.amdhsa_exception_fp_ieee_invalid_op 0
		.amdhsa_exception_fp_denorm_src 0
		.amdhsa_exception_fp_ieee_div_zero 0
		.amdhsa_exception_fp_ieee_overflow 0
		.amdhsa_exception_fp_ieee_underflow 0
		.amdhsa_exception_fp_ieee_inexact 0
		.amdhsa_exception_int_div_zero 0
	.end_amdhsa_kernel
	.section	.text._ZN9rocsparseL16conjugate_kernelILj256El21rocsparse_complex_numIdEEEvT0_PT1_,"axG",@progbits,_ZN9rocsparseL16conjugate_kernelILj256El21rocsparse_complex_numIdEEEvT0_PT1_,comdat
.Lfunc_end31:
	.size	_ZN9rocsparseL16conjugate_kernelILj256El21rocsparse_complex_numIdEEEvT0_PT1_, .Lfunc_end31-_ZN9rocsparseL16conjugate_kernelILj256El21rocsparse_complex_numIdEEEvT0_PT1_
                                        ; -- End function
	.set _ZN9rocsparseL16conjugate_kernelILj256El21rocsparse_complex_numIdEEEvT0_PT1_.num_vgpr, 4
	.set _ZN9rocsparseL16conjugate_kernelILj256El21rocsparse_complex_numIdEEEvT0_PT1_.num_agpr, 0
	.set _ZN9rocsparseL16conjugate_kernelILj256El21rocsparse_complex_numIdEEEvT0_PT1_.numbered_sgpr, 8
	.set _ZN9rocsparseL16conjugate_kernelILj256El21rocsparse_complex_numIdEEEvT0_PT1_.num_named_barrier, 0
	.set _ZN9rocsparseL16conjugate_kernelILj256El21rocsparse_complex_numIdEEEvT0_PT1_.private_seg_size, 0
	.set _ZN9rocsparseL16conjugate_kernelILj256El21rocsparse_complex_numIdEEEvT0_PT1_.uses_vcc, 1
	.set _ZN9rocsparseL16conjugate_kernelILj256El21rocsparse_complex_numIdEEEvT0_PT1_.uses_flat_scratch, 0
	.set _ZN9rocsparseL16conjugate_kernelILj256El21rocsparse_complex_numIdEEEvT0_PT1_.has_dyn_sized_stack, 0
	.set _ZN9rocsparseL16conjugate_kernelILj256El21rocsparse_complex_numIdEEEvT0_PT1_.has_recursion, 0
	.set _ZN9rocsparseL16conjugate_kernelILj256El21rocsparse_complex_numIdEEEvT0_PT1_.has_indirect_call, 0
	.section	.AMDGPU.csdata,"",@progbits
; Kernel info:
; codeLenInByte = 84
; TotalNumSgprs: 14
; NumVgprs: 4
; NumAgprs: 0
; TotalNumVgprs: 4
; ScratchSize: 0
; MemoryBound: 0
; FloatMode: 240
; IeeeMode: 1
; LDSByteSize: 0 bytes/workgroup (compile time only)
; SGPRBlocks: 1
; VGPRBlocks: 0
; NumSGPRsForWavesPerEU: 14
; NumVGPRsForWavesPerEU: 4
; AccumOffset: 4
; Occupancy: 8
; WaveLimiterHint : 0
; COMPUTE_PGM_RSRC2:SCRATCH_EN: 0
; COMPUTE_PGM_RSRC2:USER_SGPR: 2
; COMPUTE_PGM_RSRC2:TRAP_HANDLER: 0
; COMPUTE_PGM_RSRC2:TGID_X_EN: 1
; COMPUTE_PGM_RSRC2:TGID_Y_EN: 0
; COMPUTE_PGM_RSRC2:TGID_Z_EN: 0
; COMPUTE_PGM_RSRC2:TIDIG_COMP_CNT: 0
; COMPUTE_PGM_RSRC3_GFX90A:ACCUM_OFFSET: 0
; COMPUTE_PGM_RSRC3_GFX90A:TG_SPLIT: 0
	.section	.text._ZN9rocsparseL13valset_kernelILj256EiiEEvT0_T1_PS2_,"axG",@progbits,_ZN9rocsparseL13valset_kernelILj256EiiEEvT0_T1_PS2_,comdat
	.globl	_ZN9rocsparseL13valset_kernelILj256EiiEEvT0_T1_PS2_ ; -- Begin function _ZN9rocsparseL13valset_kernelILj256EiiEEvT0_T1_PS2_
	.p2align	8
	.type	_ZN9rocsparseL13valset_kernelILj256EiiEEvT0_T1_PS2_,@function
_ZN9rocsparseL13valset_kernelILj256EiiEEvT0_T1_PS2_: ; @_ZN9rocsparseL13valset_kernelILj256EiiEEvT0_T1_PS2_
; %bb.0:
	s_load_dwordx2 s[4:5], s[0:1], 0x0
	v_lshl_or_b32 v0, s2, 8, v0
	s_waitcnt lgkmcnt(0)
	v_cmp_gt_i32_e32 vcc, s4, v0
	s_and_saveexec_b64 s[2:3], vcc
	s_cbranch_execz .LBB32_2
; %bb.1:
	s_load_dwordx2 s[0:1], s[0:1], 0x8
	v_ashrrev_i32_e32 v1, 31, v0
	v_mov_b32_e32 v2, s5
	s_waitcnt lgkmcnt(0)
	v_lshl_add_u64 v[0:1], v[0:1], 2, s[0:1]
	global_store_dword v[0:1], v2, off
.LBB32_2:
	s_endpgm
	.section	.rodata,"a",@progbits
	.p2align	6, 0x0
	.amdhsa_kernel _ZN9rocsparseL13valset_kernelILj256EiiEEvT0_T1_PS2_
		.amdhsa_group_segment_fixed_size 0
		.amdhsa_private_segment_fixed_size 0
		.amdhsa_kernarg_size 16
		.amdhsa_user_sgpr_count 2
		.amdhsa_user_sgpr_dispatch_ptr 0
		.amdhsa_user_sgpr_queue_ptr 0
		.amdhsa_user_sgpr_kernarg_segment_ptr 1
		.amdhsa_user_sgpr_dispatch_id 0
		.amdhsa_user_sgpr_kernarg_preload_length 0
		.amdhsa_user_sgpr_kernarg_preload_offset 0
		.amdhsa_user_sgpr_private_segment_size 0
		.amdhsa_uses_dynamic_stack 0
		.amdhsa_enable_private_segment 0
		.amdhsa_system_sgpr_workgroup_id_x 1
		.amdhsa_system_sgpr_workgroup_id_y 0
		.amdhsa_system_sgpr_workgroup_id_z 0
		.amdhsa_system_sgpr_workgroup_info 0
		.amdhsa_system_vgpr_workitem_id 0
		.amdhsa_next_free_vgpr 3
		.amdhsa_next_free_sgpr 6
		.amdhsa_accum_offset 4
		.amdhsa_reserve_vcc 1
		.amdhsa_float_round_mode_32 0
		.amdhsa_float_round_mode_16_64 0
		.amdhsa_float_denorm_mode_32 3
		.amdhsa_float_denorm_mode_16_64 3
		.amdhsa_dx10_clamp 1
		.amdhsa_ieee_mode 1
		.amdhsa_fp16_overflow 0
		.amdhsa_tg_split 0
		.amdhsa_exception_fp_ieee_invalid_op 0
		.amdhsa_exception_fp_denorm_src 0
		.amdhsa_exception_fp_ieee_div_zero 0
		.amdhsa_exception_fp_ieee_overflow 0
		.amdhsa_exception_fp_ieee_underflow 0
		.amdhsa_exception_fp_ieee_inexact 0
		.amdhsa_exception_int_div_zero 0
	.end_amdhsa_kernel
	.section	.text._ZN9rocsparseL13valset_kernelILj256EiiEEvT0_T1_PS2_,"axG",@progbits,_ZN9rocsparseL13valset_kernelILj256EiiEEvT0_T1_PS2_,comdat
.Lfunc_end32:
	.size	_ZN9rocsparseL13valset_kernelILj256EiiEEvT0_T1_PS2_, .Lfunc_end32-_ZN9rocsparseL13valset_kernelILj256EiiEEvT0_T1_PS2_
                                        ; -- End function
	.set _ZN9rocsparseL13valset_kernelILj256EiiEEvT0_T1_PS2_.num_vgpr, 3
	.set _ZN9rocsparseL13valset_kernelILj256EiiEEvT0_T1_PS2_.num_agpr, 0
	.set _ZN9rocsparseL13valset_kernelILj256EiiEEvT0_T1_PS2_.numbered_sgpr, 6
	.set _ZN9rocsparseL13valset_kernelILj256EiiEEvT0_T1_PS2_.num_named_barrier, 0
	.set _ZN9rocsparseL13valset_kernelILj256EiiEEvT0_T1_PS2_.private_seg_size, 0
	.set _ZN9rocsparseL13valset_kernelILj256EiiEEvT0_T1_PS2_.uses_vcc, 1
	.set _ZN9rocsparseL13valset_kernelILj256EiiEEvT0_T1_PS2_.uses_flat_scratch, 0
	.set _ZN9rocsparseL13valset_kernelILj256EiiEEvT0_T1_PS2_.has_dyn_sized_stack, 0
	.set _ZN9rocsparseL13valset_kernelILj256EiiEEvT0_T1_PS2_.has_recursion, 0
	.set _ZN9rocsparseL13valset_kernelILj256EiiEEvT0_T1_PS2_.has_indirect_call, 0
	.section	.AMDGPU.csdata,"",@progbits
; Kernel info:
; codeLenInByte = 72
; TotalNumSgprs: 12
; NumVgprs: 3
; NumAgprs: 0
; TotalNumVgprs: 3
; ScratchSize: 0
; MemoryBound: 0
; FloatMode: 240
; IeeeMode: 1
; LDSByteSize: 0 bytes/workgroup (compile time only)
; SGPRBlocks: 1
; VGPRBlocks: 0
; NumSGPRsForWavesPerEU: 12
; NumVGPRsForWavesPerEU: 3
; AccumOffset: 4
; Occupancy: 8
; WaveLimiterHint : 0
; COMPUTE_PGM_RSRC2:SCRATCH_EN: 0
; COMPUTE_PGM_RSRC2:USER_SGPR: 2
; COMPUTE_PGM_RSRC2:TRAP_HANDLER: 0
; COMPUTE_PGM_RSRC2:TGID_X_EN: 1
; COMPUTE_PGM_RSRC2:TGID_Y_EN: 0
; COMPUTE_PGM_RSRC2:TGID_Z_EN: 0
; COMPUTE_PGM_RSRC2:TIDIG_COMP_CNT: 0
; COMPUTE_PGM_RSRC3_GFX90A:ACCUM_OFFSET: 0
; COMPUTE_PGM_RSRC3_GFX90A:TG_SPLIT: 0
	.section	.text._ZN9rocsparseL13valset_kernelILj256EilEEvT0_T1_PS2_,"axG",@progbits,_ZN9rocsparseL13valset_kernelILj256EilEEvT0_T1_PS2_,comdat
	.globl	_ZN9rocsparseL13valset_kernelILj256EilEEvT0_T1_PS2_ ; -- Begin function _ZN9rocsparseL13valset_kernelILj256EilEEvT0_T1_PS2_
	.p2align	8
	.type	_ZN9rocsparseL13valset_kernelILj256EilEEvT0_T1_PS2_,@function
_ZN9rocsparseL13valset_kernelILj256EilEEvT0_T1_PS2_: ; @_ZN9rocsparseL13valset_kernelILj256EilEEvT0_T1_PS2_
; %bb.0:
	s_load_dword s3, s[0:1], 0x0
	v_lshl_or_b32 v0, s2, 8, v0
	s_waitcnt lgkmcnt(0)
	v_cmp_gt_i32_e32 vcc, s3, v0
	s_and_saveexec_b64 s[2:3], vcc
	s_cbranch_execz .LBB33_2
; %bb.1:
	s_load_dwordx4 s[4:7], s[0:1], 0x8
	v_ashrrev_i32_e32 v1, 31, v0
	s_waitcnt lgkmcnt(0)
	v_mov_b32_e32 v2, s6
	v_mov_b32_e32 v3, s7
	;; [unrolled: 1-line block ×4, first 2 shown]
	v_lshl_add_u64 v[0:1], v[0:1], 3, v[2:3]
	global_store_dwordx2 v[0:1], v[4:5], off
.LBB33_2:
	s_endpgm
	.section	.rodata,"a",@progbits
	.p2align	6, 0x0
	.amdhsa_kernel _ZN9rocsparseL13valset_kernelILj256EilEEvT0_T1_PS2_
		.amdhsa_group_segment_fixed_size 0
		.amdhsa_private_segment_fixed_size 0
		.amdhsa_kernarg_size 24
		.amdhsa_user_sgpr_count 2
		.amdhsa_user_sgpr_dispatch_ptr 0
		.amdhsa_user_sgpr_queue_ptr 0
		.amdhsa_user_sgpr_kernarg_segment_ptr 1
		.amdhsa_user_sgpr_dispatch_id 0
		.amdhsa_user_sgpr_kernarg_preload_length 0
		.amdhsa_user_sgpr_kernarg_preload_offset 0
		.amdhsa_user_sgpr_private_segment_size 0
		.amdhsa_uses_dynamic_stack 0
		.amdhsa_enable_private_segment 0
		.amdhsa_system_sgpr_workgroup_id_x 1
		.amdhsa_system_sgpr_workgroup_id_y 0
		.amdhsa_system_sgpr_workgroup_id_z 0
		.amdhsa_system_sgpr_workgroup_info 0
		.amdhsa_system_vgpr_workitem_id 0
		.amdhsa_next_free_vgpr 6
		.amdhsa_next_free_sgpr 8
		.amdhsa_accum_offset 8
		.amdhsa_reserve_vcc 1
		.amdhsa_float_round_mode_32 0
		.amdhsa_float_round_mode_16_64 0
		.amdhsa_float_denorm_mode_32 3
		.amdhsa_float_denorm_mode_16_64 3
		.amdhsa_dx10_clamp 1
		.amdhsa_ieee_mode 1
		.amdhsa_fp16_overflow 0
		.amdhsa_tg_split 0
		.amdhsa_exception_fp_ieee_invalid_op 0
		.amdhsa_exception_fp_denorm_src 0
		.amdhsa_exception_fp_ieee_div_zero 0
		.amdhsa_exception_fp_ieee_overflow 0
		.amdhsa_exception_fp_ieee_underflow 0
		.amdhsa_exception_fp_ieee_inexact 0
		.amdhsa_exception_int_div_zero 0
	.end_amdhsa_kernel
	.section	.text._ZN9rocsparseL13valset_kernelILj256EilEEvT0_T1_PS2_,"axG",@progbits,_ZN9rocsparseL13valset_kernelILj256EilEEvT0_T1_PS2_,comdat
.Lfunc_end33:
	.size	_ZN9rocsparseL13valset_kernelILj256EilEEvT0_T1_PS2_, .Lfunc_end33-_ZN9rocsparseL13valset_kernelILj256EilEEvT0_T1_PS2_
                                        ; -- End function
	.set _ZN9rocsparseL13valset_kernelILj256EilEEvT0_T1_PS2_.num_vgpr, 6
	.set _ZN9rocsparseL13valset_kernelILj256EilEEvT0_T1_PS2_.num_agpr, 0
	.set _ZN9rocsparseL13valset_kernelILj256EilEEvT0_T1_PS2_.numbered_sgpr, 8
	.set _ZN9rocsparseL13valset_kernelILj256EilEEvT0_T1_PS2_.num_named_barrier, 0
	.set _ZN9rocsparseL13valset_kernelILj256EilEEvT0_T1_PS2_.private_seg_size, 0
	.set _ZN9rocsparseL13valset_kernelILj256EilEEvT0_T1_PS2_.uses_vcc, 1
	.set _ZN9rocsparseL13valset_kernelILj256EilEEvT0_T1_PS2_.uses_flat_scratch, 0
	.set _ZN9rocsparseL13valset_kernelILj256EilEEvT0_T1_PS2_.has_dyn_sized_stack, 0
	.set _ZN9rocsparseL13valset_kernelILj256EilEEvT0_T1_PS2_.has_recursion, 0
	.set _ZN9rocsparseL13valset_kernelILj256EilEEvT0_T1_PS2_.has_indirect_call, 0
	.section	.AMDGPU.csdata,"",@progbits
; Kernel info:
; codeLenInByte = 84
; TotalNumSgprs: 14
; NumVgprs: 6
; NumAgprs: 0
; TotalNumVgprs: 6
; ScratchSize: 0
; MemoryBound: 0
; FloatMode: 240
; IeeeMode: 1
; LDSByteSize: 0 bytes/workgroup (compile time only)
; SGPRBlocks: 1
; VGPRBlocks: 0
; NumSGPRsForWavesPerEU: 14
; NumVGPRsForWavesPerEU: 6
; AccumOffset: 8
; Occupancy: 8
; WaveLimiterHint : 0
; COMPUTE_PGM_RSRC2:SCRATCH_EN: 0
; COMPUTE_PGM_RSRC2:USER_SGPR: 2
; COMPUTE_PGM_RSRC2:TRAP_HANDLER: 0
; COMPUTE_PGM_RSRC2:TGID_X_EN: 1
; COMPUTE_PGM_RSRC2:TGID_Y_EN: 0
; COMPUTE_PGM_RSRC2:TGID_Z_EN: 0
; COMPUTE_PGM_RSRC2:TIDIG_COMP_CNT: 0
; COMPUTE_PGM_RSRC3_GFX90A:ACCUM_OFFSET: 1
; COMPUTE_PGM_RSRC3_GFX90A:TG_SPLIT: 0
	.section	.text._ZN9rocsparseL13valset_kernelILj256EliEEvT0_T1_PS2_,"axG",@progbits,_ZN9rocsparseL13valset_kernelILj256EliEEvT0_T1_PS2_,comdat
	.globl	_ZN9rocsparseL13valset_kernelILj256EliEEvT0_T1_PS2_ ; -- Begin function _ZN9rocsparseL13valset_kernelILj256EliEEvT0_T1_PS2_
	.p2align	8
	.type	_ZN9rocsparseL13valset_kernelILj256EliEEvT0_T1_PS2_,@function
_ZN9rocsparseL13valset_kernelILj256EliEEvT0_T1_PS2_: ; @_ZN9rocsparseL13valset_kernelILj256EliEEvT0_T1_PS2_
; %bb.0:
	s_load_dwordx2 s[4:5], s[0:1], 0x0
	v_lshl_or_b32 v0, s2, 8, v0
	v_mov_b32_e32 v1, 0
	s_waitcnt lgkmcnt(0)
	v_cmp_gt_i64_e32 vcc, s[4:5], v[0:1]
	s_and_saveexec_b64 s[2:3], vcc
	s_cbranch_execz .LBB34_2
; %bb.1:
	s_load_dwordx2 s[2:3], s[0:1], 0x10
	s_load_dword s4, s[0:1], 0x8
	s_waitcnt lgkmcnt(0)
	v_lshl_add_u64 v[0:1], v[0:1], 2, s[2:3]
	v_mov_b32_e32 v2, s4
	global_store_dword v[0:1], v2, off
.LBB34_2:
	s_endpgm
	.section	.rodata,"a",@progbits
	.p2align	6, 0x0
	.amdhsa_kernel _ZN9rocsparseL13valset_kernelILj256EliEEvT0_T1_PS2_
		.amdhsa_group_segment_fixed_size 0
		.amdhsa_private_segment_fixed_size 0
		.amdhsa_kernarg_size 24
		.amdhsa_user_sgpr_count 2
		.amdhsa_user_sgpr_dispatch_ptr 0
		.amdhsa_user_sgpr_queue_ptr 0
		.amdhsa_user_sgpr_kernarg_segment_ptr 1
		.amdhsa_user_sgpr_dispatch_id 0
		.amdhsa_user_sgpr_kernarg_preload_length 0
		.amdhsa_user_sgpr_kernarg_preload_offset 0
		.amdhsa_user_sgpr_private_segment_size 0
		.amdhsa_uses_dynamic_stack 0
		.amdhsa_enable_private_segment 0
		.amdhsa_system_sgpr_workgroup_id_x 1
		.amdhsa_system_sgpr_workgroup_id_y 0
		.amdhsa_system_sgpr_workgroup_id_z 0
		.amdhsa_system_sgpr_workgroup_info 0
		.amdhsa_system_vgpr_workitem_id 0
		.amdhsa_next_free_vgpr 3
		.amdhsa_next_free_sgpr 6
		.amdhsa_accum_offset 4
		.amdhsa_reserve_vcc 1
		.amdhsa_float_round_mode_32 0
		.amdhsa_float_round_mode_16_64 0
		.amdhsa_float_denorm_mode_32 3
		.amdhsa_float_denorm_mode_16_64 3
		.amdhsa_dx10_clamp 1
		.amdhsa_ieee_mode 1
		.amdhsa_fp16_overflow 0
		.amdhsa_tg_split 0
		.amdhsa_exception_fp_ieee_invalid_op 0
		.amdhsa_exception_fp_denorm_src 0
		.amdhsa_exception_fp_ieee_div_zero 0
		.amdhsa_exception_fp_ieee_overflow 0
		.amdhsa_exception_fp_ieee_underflow 0
		.amdhsa_exception_fp_ieee_inexact 0
		.amdhsa_exception_int_div_zero 0
	.end_amdhsa_kernel
	.section	.text._ZN9rocsparseL13valset_kernelILj256EliEEvT0_T1_PS2_,"axG",@progbits,_ZN9rocsparseL13valset_kernelILj256EliEEvT0_T1_PS2_,comdat
.Lfunc_end34:
	.size	_ZN9rocsparseL13valset_kernelILj256EliEEvT0_T1_PS2_, .Lfunc_end34-_ZN9rocsparseL13valset_kernelILj256EliEEvT0_T1_PS2_
                                        ; -- End function
	.set _ZN9rocsparseL13valset_kernelILj256EliEEvT0_T1_PS2_.num_vgpr, 3
	.set _ZN9rocsparseL13valset_kernelILj256EliEEvT0_T1_PS2_.num_agpr, 0
	.set _ZN9rocsparseL13valset_kernelILj256EliEEvT0_T1_PS2_.numbered_sgpr, 6
	.set _ZN9rocsparseL13valset_kernelILj256EliEEvT0_T1_PS2_.num_named_barrier, 0
	.set _ZN9rocsparseL13valset_kernelILj256EliEEvT0_T1_PS2_.private_seg_size, 0
	.set _ZN9rocsparseL13valset_kernelILj256EliEEvT0_T1_PS2_.uses_vcc, 1
	.set _ZN9rocsparseL13valset_kernelILj256EliEEvT0_T1_PS2_.uses_flat_scratch, 0
	.set _ZN9rocsparseL13valset_kernelILj256EliEEvT0_T1_PS2_.has_dyn_sized_stack, 0
	.set _ZN9rocsparseL13valset_kernelILj256EliEEvT0_T1_PS2_.has_recursion, 0
	.set _ZN9rocsparseL13valset_kernelILj256EliEEvT0_T1_PS2_.has_indirect_call, 0
	.section	.AMDGPU.csdata,"",@progbits
; Kernel info:
; codeLenInByte = 80
; TotalNumSgprs: 12
; NumVgprs: 3
; NumAgprs: 0
; TotalNumVgprs: 3
; ScratchSize: 0
; MemoryBound: 0
; FloatMode: 240
; IeeeMode: 1
; LDSByteSize: 0 bytes/workgroup (compile time only)
; SGPRBlocks: 1
; VGPRBlocks: 0
; NumSGPRsForWavesPerEU: 12
; NumVGPRsForWavesPerEU: 3
; AccumOffset: 4
; Occupancy: 8
; WaveLimiterHint : 0
; COMPUTE_PGM_RSRC2:SCRATCH_EN: 0
; COMPUTE_PGM_RSRC2:USER_SGPR: 2
; COMPUTE_PGM_RSRC2:TRAP_HANDLER: 0
; COMPUTE_PGM_RSRC2:TGID_X_EN: 1
; COMPUTE_PGM_RSRC2:TGID_Y_EN: 0
; COMPUTE_PGM_RSRC2:TGID_Z_EN: 0
; COMPUTE_PGM_RSRC2:TIDIG_COMP_CNT: 0
; COMPUTE_PGM_RSRC3_GFX90A:ACCUM_OFFSET: 0
; COMPUTE_PGM_RSRC3_GFX90A:TG_SPLIT: 0
	.section	.text._ZN9rocsparseL13valset_kernelILj256EllEEvT0_T1_PS2_,"axG",@progbits,_ZN9rocsparseL13valset_kernelILj256EllEEvT0_T1_PS2_,comdat
	.globl	_ZN9rocsparseL13valset_kernelILj256EllEEvT0_T1_PS2_ ; -- Begin function _ZN9rocsparseL13valset_kernelILj256EllEEvT0_T1_PS2_
	.p2align	8
	.type	_ZN9rocsparseL13valset_kernelILj256EllEEvT0_T1_PS2_,@function
_ZN9rocsparseL13valset_kernelILj256EllEEvT0_T1_PS2_: ; @_ZN9rocsparseL13valset_kernelILj256EllEEvT0_T1_PS2_
; %bb.0:
	s_load_dwordx4 s[4:7], s[0:1], 0x0
	v_lshl_or_b32 v0, s2, 8, v0
	v_mov_b32_e32 v1, 0
	s_waitcnt lgkmcnt(0)
	v_cmp_gt_i64_e32 vcc, s[4:5], v[0:1]
	s_and_saveexec_b64 s[2:3], vcc
	s_cbranch_execz .LBB35_2
; %bb.1:
	s_load_dwordx2 s[0:1], s[0:1], 0x10
	v_mov_b32_e32 v4, s6
	v_mov_b32_e32 v5, s7
	s_waitcnt lgkmcnt(0)
	v_mov_b32_e32 v2, s0
	v_mov_b32_e32 v3, s1
	v_lshl_add_u64 v[0:1], v[0:1], 3, v[2:3]
	global_store_dwordx2 v[0:1], v[4:5], off
.LBB35_2:
	s_endpgm
	.section	.rodata,"a",@progbits
	.p2align	6, 0x0
	.amdhsa_kernel _ZN9rocsparseL13valset_kernelILj256EllEEvT0_T1_PS2_
		.amdhsa_group_segment_fixed_size 0
		.amdhsa_private_segment_fixed_size 0
		.amdhsa_kernarg_size 24
		.amdhsa_user_sgpr_count 2
		.amdhsa_user_sgpr_dispatch_ptr 0
		.amdhsa_user_sgpr_queue_ptr 0
		.amdhsa_user_sgpr_kernarg_segment_ptr 1
		.amdhsa_user_sgpr_dispatch_id 0
		.amdhsa_user_sgpr_kernarg_preload_length 0
		.amdhsa_user_sgpr_kernarg_preload_offset 0
		.amdhsa_user_sgpr_private_segment_size 0
		.amdhsa_uses_dynamic_stack 0
		.amdhsa_enable_private_segment 0
		.amdhsa_system_sgpr_workgroup_id_x 1
		.amdhsa_system_sgpr_workgroup_id_y 0
		.amdhsa_system_sgpr_workgroup_id_z 0
		.amdhsa_system_sgpr_workgroup_info 0
		.amdhsa_system_vgpr_workitem_id 0
		.amdhsa_next_free_vgpr 6
		.amdhsa_next_free_sgpr 8
		.amdhsa_accum_offset 8
		.amdhsa_reserve_vcc 1
		.amdhsa_float_round_mode_32 0
		.amdhsa_float_round_mode_16_64 0
		.amdhsa_float_denorm_mode_32 3
		.amdhsa_float_denorm_mode_16_64 3
		.amdhsa_dx10_clamp 1
		.amdhsa_ieee_mode 1
		.amdhsa_fp16_overflow 0
		.amdhsa_tg_split 0
		.amdhsa_exception_fp_ieee_invalid_op 0
		.amdhsa_exception_fp_denorm_src 0
		.amdhsa_exception_fp_ieee_div_zero 0
		.amdhsa_exception_fp_ieee_overflow 0
		.amdhsa_exception_fp_ieee_underflow 0
		.amdhsa_exception_fp_ieee_inexact 0
		.amdhsa_exception_int_div_zero 0
	.end_amdhsa_kernel
	.section	.text._ZN9rocsparseL13valset_kernelILj256EllEEvT0_T1_PS2_,"axG",@progbits,_ZN9rocsparseL13valset_kernelILj256EllEEvT0_T1_PS2_,comdat
.Lfunc_end35:
	.size	_ZN9rocsparseL13valset_kernelILj256EllEEvT0_T1_PS2_, .Lfunc_end35-_ZN9rocsparseL13valset_kernelILj256EllEEvT0_T1_PS2_
                                        ; -- End function
	.set _ZN9rocsparseL13valset_kernelILj256EllEEvT0_T1_PS2_.num_vgpr, 6
	.set _ZN9rocsparseL13valset_kernelILj256EllEEvT0_T1_PS2_.num_agpr, 0
	.set _ZN9rocsparseL13valset_kernelILj256EllEEvT0_T1_PS2_.numbered_sgpr, 8
	.set _ZN9rocsparseL13valset_kernelILj256EllEEvT0_T1_PS2_.num_named_barrier, 0
	.set _ZN9rocsparseL13valset_kernelILj256EllEEvT0_T1_PS2_.private_seg_size, 0
	.set _ZN9rocsparseL13valset_kernelILj256EllEEvT0_T1_PS2_.uses_vcc, 1
	.set _ZN9rocsparseL13valset_kernelILj256EllEEvT0_T1_PS2_.uses_flat_scratch, 0
	.set _ZN9rocsparseL13valset_kernelILj256EllEEvT0_T1_PS2_.has_dyn_sized_stack, 0
	.set _ZN9rocsparseL13valset_kernelILj256EllEEvT0_T1_PS2_.has_recursion, 0
	.set _ZN9rocsparseL13valset_kernelILj256EllEEvT0_T1_PS2_.has_indirect_call, 0
	.section	.AMDGPU.csdata,"",@progbits
; Kernel info:
; codeLenInByte = 84
; TotalNumSgprs: 14
; NumVgprs: 6
; NumAgprs: 0
; TotalNumVgprs: 6
; ScratchSize: 0
; MemoryBound: 0
; FloatMode: 240
; IeeeMode: 1
; LDSByteSize: 0 bytes/workgroup (compile time only)
; SGPRBlocks: 1
; VGPRBlocks: 0
; NumSGPRsForWavesPerEU: 14
; NumVGPRsForWavesPerEU: 6
; AccumOffset: 8
; Occupancy: 8
; WaveLimiterHint : 0
; COMPUTE_PGM_RSRC2:SCRATCH_EN: 0
; COMPUTE_PGM_RSRC2:USER_SGPR: 2
; COMPUTE_PGM_RSRC2:TRAP_HANDLER: 0
; COMPUTE_PGM_RSRC2:TGID_X_EN: 1
; COMPUTE_PGM_RSRC2:TGID_Y_EN: 0
; COMPUTE_PGM_RSRC2:TGID_Z_EN: 0
; COMPUTE_PGM_RSRC2:TIDIG_COMP_CNT: 0
; COMPUTE_PGM_RSRC3_GFX90A:ACCUM_OFFSET: 1
; COMPUTE_PGM_RSRC3_GFX90A:TG_SPLIT: 0
	.section	.text._ZN9rocsparseL16valset_2d_kernelILj256EiDF16_EEvT0_S1_lT1_PS2_16rocsparse_order_,"axG",@progbits,_ZN9rocsparseL16valset_2d_kernelILj256EiDF16_EEvT0_S1_lT1_PS2_16rocsparse_order_,comdat
	.globl	_ZN9rocsparseL16valset_2d_kernelILj256EiDF16_EEvT0_S1_lT1_PS2_16rocsparse_order_ ; -- Begin function _ZN9rocsparseL16valset_2d_kernelILj256EiDF16_EEvT0_S1_lT1_PS2_16rocsparse_order_
	.p2align	8
	.type	_ZN9rocsparseL16valset_2d_kernelILj256EiDF16_EEvT0_S1_lT1_PS2_16rocsparse_order_,@function
_ZN9rocsparseL16valset_2d_kernelILj256EiDF16_EEvT0_S1_lT1_PS2_16rocsparse_order_: ; @_ZN9rocsparseL16valset_2d_kernelILj256EiDF16_EEvT0_S1_lT1_PS2_16rocsparse_order_
; %bb.0:
	s_load_dwordx2 s[4:5], s[0:1], 0x0
	v_lshl_or_b32 v0, s2, 8, v0
	s_waitcnt lgkmcnt(0)
	s_mul_i32 s2, s5, s4
	v_cmp_gt_i32_e32 vcc, s2, v0
	s_and_saveexec_b64 s[2:3], vcc
	s_cbranch_execz .LBB36_2
; %bb.1:
	s_load_dword s2, s[0:1], 0x20
	v_sub_u32_e32 v2, 0, v0
	v_max_i32_e32 v2, v0, v2
	s_waitcnt lgkmcnt(0)
	s_cmp_eq_u32 s2, 1
	s_cselect_b32 s6, s4, s5
	s_abs_i32 s7, s6
	v_cvt_f32_u32_e32 v1, s7
	s_load_dwordx2 s[2:3], s[0:1], 0x8
	s_load_dword s8, s[0:1], 0x10
	s_load_dwordx2 s[4:5], s[0:1], 0x18
	s_sub_i32 s0, 0, s7
	v_xor_b32_e32 v3, s6, v0
	v_rcp_iflag_f32_e32 v1, v1
	v_ashrrev_i32_e32 v3, 31, v3
	v_mul_f32_e32 v1, 0x4f7ffffe, v1
	v_cvt_u32_f32_e32 v1, v1
	v_mul_lo_u32 v4, s0, v1
	v_mul_hi_u32 v4, v1, v4
	v_add_u32_e32 v1, v1, v4
	v_mul_hi_u32 v1, v2, v1
	v_mul_lo_u32 v4, v1, s7
	v_sub_u32_e32 v2, v2, v4
	v_add_u32_e32 v5, 1, v1
	v_cmp_le_u32_e32 vcc, s7, v2
	v_subrev_u32_e32 v4, s7, v2
	s_nop 0
	v_cndmask_b32_e32 v1, v1, v5, vcc
	v_cndmask_b32_e32 v2, v2, v4, vcc
	v_add_u32_e32 v4, 1, v1
	v_cmp_le_u32_e32 vcc, s7, v2
	s_nop 1
	v_cndmask_b32_e32 v1, v1, v4, vcc
	v_xor_b32_e32 v1, v1, v3
	v_sub_u32_e32 v2, v1, v3
	v_ashrrev_i32_e32 v3, 31, v2
	v_mul_lo_u32 v1, v2, s6
	s_waitcnt lgkmcnt(0)
	v_mul_lo_u32 v4, s2, v3
	v_mul_lo_u32 v5, s3, v2
	v_mad_u64_u32 v[2:3], s[0:1], s2, v2, 0
	v_sub_u32_e32 v0, v0, v1
	v_add3_u32 v3, v3, v4, v5
	v_ashrrev_i32_e32 v1, 31, v0
	v_lshl_add_u64 v[2:3], v[2:3], 1, s[4:5]
	v_lshl_add_u64 v[0:1], v[0:1], 1, v[2:3]
	v_mov_b32_e32 v2, s8
	global_store_short v[0:1], v2, off
.LBB36_2:
	s_endpgm
	.section	.rodata,"a",@progbits
	.p2align	6, 0x0
	.amdhsa_kernel _ZN9rocsparseL16valset_2d_kernelILj256EiDF16_EEvT0_S1_lT1_PS2_16rocsparse_order_
		.amdhsa_group_segment_fixed_size 0
		.amdhsa_private_segment_fixed_size 0
		.amdhsa_kernarg_size 36
		.amdhsa_user_sgpr_count 2
		.amdhsa_user_sgpr_dispatch_ptr 0
		.amdhsa_user_sgpr_queue_ptr 0
		.amdhsa_user_sgpr_kernarg_segment_ptr 1
		.amdhsa_user_sgpr_dispatch_id 0
		.amdhsa_user_sgpr_kernarg_preload_length 0
		.amdhsa_user_sgpr_kernarg_preload_offset 0
		.amdhsa_user_sgpr_private_segment_size 0
		.amdhsa_uses_dynamic_stack 0
		.amdhsa_enable_private_segment 0
		.amdhsa_system_sgpr_workgroup_id_x 1
		.amdhsa_system_sgpr_workgroup_id_y 0
		.amdhsa_system_sgpr_workgroup_id_z 0
		.amdhsa_system_sgpr_workgroup_info 0
		.amdhsa_system_vgpr_workitem_id 0
		.amdhsa_next_free_vgpr 6
		.amdhsa_next_free_sgpr 9
		.amdhsa_accum_offset 8
		.amdhsa_reserve_vcc 1
		.amdhsa_float_round_mode_32 0
		.amdhsa_float_round_mode_16_64 0
		.amdhsa_float_denorm_mode_32 3
		.amdhsa_float_denorm_mode_16_64 3
		.amdhsa_dx10_clamp 1
		.amdhsa_ieee_mode 1
		.amdhsa_fp16_overflow 0
		.amdhsa_tg_split 0
		.amdhsa_exception_fp_ieee_invalid_op 0
		.amdhsa_exception_fp_denorm_src 0
		.amdhsa_exception_fp_ieee_div_zero 0
		.amdhsa_exception_fp_ieee_overflow 0
		.amdhsa_exception_fp_ieee_underflow 0
		.amdhsa_exception_fp_ieee_inexact 0
		.amdhsa_exception_int_div_zero 0
	.end_amdhsa_kernel
	.section	.text._ZN9rocsparseL16valset_2d_kernelILj256EiDF16_EEvT0_S1_lT1_PS2_16rocsparse_order_,"axG",@progbits,_ZN9rocsparseL16valset_2d_kernelILj256EiDF16_EEvT0_S1_lT1_PS2_16rocsparse_order_,comdat
.Lfunc_end36:
	.size	_ZN9rocsparseL16valset_2d_kernelILj256EiDF16_EEvT0_S1_lT1_PS2_16rocsparse_order_, .Lfunc_end36-_ZN9rocsparseL16valset_2d_kernelILj256EiDF16_EEvT0_S1_lT1_PS2_16rocsparse_order_
                                        ; -- End function
	.set _ZN9rocsparseL16valset_2d_kernelILj256EiDF16_EEvT0_S1_lT1_PS2_16rocsparse_order_.num_vgpr, 6
	.set _ZN9rocsparseL16valset_2d_kernelILj256EiDF16_EEvT0_S1_lT1_PS2_16rocsparse_order_.num_agpr, 0
	.set _ZN9rocsparseL16valset_2d_kernelILj256EiDF16_EEvT0_S1_lT1_PS2_16rocsparse_order_.numbered_sgpr, 9
	.set _ZN9rocsparseL16valset_2d_kernelILj256EiDF16_EEvT0_S1_lT1_PS2_16rocsparse_order_.num_named_barrier, 0
	.set _ZN9rocsparseL16valset_2d_kernelILj256EiDF16_EEvT0_S1_lT1_PS2_16rocsparse_order_.private_seg_size, 0
	.set _ZN9rocsparseL16valset_2d_kernelILj256EiDF16_EEvT0_S1_lT1_PS2_16rocsparse_order_.uses_vcc, 1
	.set _ZN9rocsparseL16valset_2d_kernelILj256EiDF16_EEvT0_S1_lT1_PS2_16rocsparse_order_.uses_flat_scratch, 0
	.set _ZN9rocsparseL16valset_2d_kernelILj256EiDF16_EEvT0_S1_lT1_PS2_16rocsparse_order_.has_dyn_sized_stack, 0
	.set _ZN9rocsparseL16valset_2d_kernelILj256EiDF16_EEvT0_S1_lT1_PS2_16rocsparse_order_.has_recursion, 0
	.set _ZN9rocsparseL16valset_2d_kernelILj256EiDF16_EEvT0_S1_lT1_PS2_16rocsparse_order_.has_indirect_call, 0
	.section	.AMDGPU.csdata,"",@progbits
; Kernel info:
; codeLenInByte = 300
; TotalNumSgprs: 15
; NumVgprs: 6
; NumAgprs: 0
; TotalNumVgprs: 6
; ScratchSize: 0
; MemoryBound: 0
; FloatMode: 240
; IeeeMode: 1
; LDSByteSize: 0 bytes/workgroup (compile time only)
; SGPRBlocks: 1
; VGPRBlocks: 0
; NumSGPRsForWavesPerEU: 15
; NumVGPRsForWavesPerEU: 6
; AccumOffset: 8
; Occupancy: 8
; WaveLimiterHint : 0
; COMPUTE_PGM_RSRC2:SCRATCH_EN: 0
; COMPUTE_PGM_RSRC2:USER_SGPR: 2
; COMPUTE_PGM_RSRC2:TRAP_HANDLER: 0
; COMPUTE_PGM_RSRC2:TGID_X_EN: 1
; COMPUTE_PGM_RSRC2:TGID_Y_EN: 0
; COMPUTE_PGM_RSRC2:TGID_Z_EN: 0
; COMPUTE_PGM_RSRC2:TIDIG_COMP_CNT: 0
; COMPUTE_PGM_RSRC3_GFX90A:ACCUM_OFFSET: 1
; COMPUTE_PGM_RSRC3_GFX90A:TG_SPLIT: 0
	.section	.text._ZN9rocsparseL16valset_2d_kernelILj256Ei18rocsparse_bfloat16EEvT0_S2_lT1_PS3_16rocsparse_order_,"axG",@progbits,_ZN9rocsparseL16valset_2d_kernelILj256Ei18rocsparse_bfloat16EEvT0_S2_lT1_PS3_16rocsparse_order_,comdat
	.globl	_ZN9rocsparseL16valset_2d_kernelILj256Ei18rocsparse_bfloat16EEvT0_S2_lT1_PS3_16rocsparse_order_ ; -- Begin function _ZN9rocsparseL16valset_2d_kernelILj256Ei18rocsparse_bfloat16EEvT0_S2_lT1_PS3_16rocsparse_order_
	.p2align	8
	.type	_ZN9rocsparseL16valset_2d_kernelILj256Ei18rocsparse_bfloat16EEvT0_S2_lT1_PS3_16rocsparse_order_,@function
_ZN9rocsparseL16valset_2d_kernelILj256Ei18rocsparse_bfloat16EEvT0_S2_lT1_PS3_16rocsparse_order_: ; @_ZN9rocsparseL16valset_2d_kernelILj256Ei18rocsparse_bfloat16EEvT0_S2_lT1_PS3_16rocsparse_order_
; %bb.0:
	s_load_dwordx2 s[4:5], s[0:1], 0x0
	v_lshl_or_b32 v0, s2, 8, v0
	s_waitcnt lgkmcnt(0)
	s_mul_i32 s2, s5, s4
	v_cmp_gt_i32_e32 vcc, s2, v0
	s_and_saveexec_b64 s[2:3], vcc
	s_cbranch_execz .LBB37_2
; %bb.1:
	s_load_dword s2, s[0:1], 0x20
	v_sub_u32_e32 v2, 0, v0
	v_max_i32_e32 v2, v0, v2
	s_waitcnt lgkmcnt(0)
	s_cmp_eq_u32 s2, 1
	s_cselect_b32 s6, s4, s5
	s_abs_i32 s7, s6
	v_cvt_f32_u32_e32 v1, s7
	s_load_dwordx2 s[2:3], s[0:1], 0x8
	s_load_dword s8, s[0:1], 0x10
	s_load_dwordx2 s[4:5], s[0:1], 0x18
	s_sub_i32 s0, 0, s7
	v_xor_b32_e32 v3, s6, v0
	v_rcp_iflag_f32_e32 v1, v1
	v_ashrrev_i32_e32 v3, 31, v3
	v_mul_f32_e32 v1, 0x4f7ffffe, v1
	v_cvt_u32_f32_e32 v1, v1
	v_mul_lo_u32 v4, s0, v1
	v_mul_hi_u32 v4, v1, v4
	v_add_u32_e32 v1, v1, v4
	v_mul_hi_u32 v1, v2, v1
	v_mul_lo_u32 v4, v1, s7
	v_sub_u32_e32 v2, v2, v4
	v_add_u32_e32 v5, 1, v1
	v_cmp_le_u32_e32 vcc, s7, v2
	v_subrev_u32_e32 v4, s7, v2
	s_nop 0
	v_cndmask_b32_e32 v1, v1, v5, vcc
	v_cndmask_b32_e32 v2, v2, v4, vcc
	v_add_u32_e32 v4, 1, v1
	v_cmp_le_u32_e32 vcc, s7, v2
	s_nop 1
	v_cndmask_b32_e32 v1, v1, v4, vcc
	v_xor_b32_e32 v1, v1, v3
	v_sub_u32_e32 v2, v1, v3
	v_ashrrev_i32_e32 v3, 31, v2
	v_mul_lo_u32 v1, v2, s6
	s_waitcnt lgkmcnt(0)
	v_mul_lo_u32 v4, s2, v3
	v_mul_lo_u32 v5, s3, v2
	v_mad_u64_u32 v[2:3], s[0:1], s2, v2, 0
	v_sub_u32_e32 v0, v0, v1
	v_add3_u32 v3, v3, v4, v5
	v_ashrrev_i32_e32 v1, 31, v0
	v_lshl_add_u64 v[2:3], v[2:3], 1, s[4:5]
	v_lshl_add_u64 v[0:1], v[0:1], 1, v[2:3]
	v_mov_b32_e32 v2, s8
	global_store_short v[0:1], v2, off
.LBB37_2:
	s_endpgm
	.section	.rodata,"a",@progbits
	.p2align	6, 0x0
	.amdhsa_kernel _ZN9rocsparseL16valset_2d_kernelILj256Ei18rocsparse_bfloat16EEvT0_S2_lT1_PS3_16rocsparse_order_
		.amdhsa_group_segment_fixed_size 0
		.amdhsa_private_segment_fixed_size 0
		.amdhsa_kernarg_size 36
		.amdhsa_user_sgpr_count 2
		.amdhsa_user_sgpr_dispatch_ptr 0
		.amdhsa_user_sgpr_queue_ptr 0
		.amdhsa_user_sgpr_kernarg_segment_ptr 1
		.amdhsa_user_sgpr_dispatch_id 0
		.amdhsa_user_sgpr_kernarg_preload_length 0
		.amdhsa_user_sgpr_kernarg_preload_offset 0
		.amdhsa_user_sgpr_private_segment_size 0
		.amdhsa_uses_dynamic_stack 0
		.amdhsa_enable_private_segment 0
		.amdhsa_system_sgpr_workgroup_id_x 1
		.amdhsa_system_sgpr_workgroup_id_y 0
		.amdhsa_system_sgpr_workgroup_id_z 0
		.amdhsa_system_sgpr_workgroup_info 0
		.amdhsa_system_vgpr_workitem_id 0
		.amdhsa_next_free_vgpr 6
		.amdhsa_next_free_sgpr 9
		.amdhsa_accum_offset 8
		.amdhsa_reserve_vcc 1
		.amdhsa_float_round_mode_32 0
		.amdhsa_float_round_mode_16_64 0
		.amdhsa_float_denorm_mode_32 3
		.amdhsa_float_denorm_mode_16_64 3
		.amdhsa_dx10_clamp 1
		.amdhsa_ieee_mode 1
		.amdhsa_fp16_overflow 0
		.amdhsa_tg_split 0
		.amdhsa_exception_fp_ieee_invalid_op 0
		.amdhsa_exception_fp_denorm_src 0
		.amdhsa_exception_fp_ieee_div_zero 0
		.amdhsa_exception_fp_ieee_overflow 0
		.amdhsa_exception_fp_ieee_underflow 0
		.amdhsa_exception_fp_ieee_inexact 0
		.amdhsa_exception_int_div_zero 0
	.end_amdhsa_kernel
	.section	.text._ZN9rocsparseL16valset_2d_kernelILj256Ei18rocsparse_bfloat16EEvT0_S2_lT1_PS3_16rocsparse_order_,"axG",@progbits,_ZN9rocsparseL16valset_2d_kernelILj256Ei18rocsparse_bfloat16EEvT0_S2_lT1_PS3_16rocsparse_order_,comdat
.Lfunc_end37:
	.size	_ZN9rocsparseL16valset_2d_kernelILj256Ei18rocsparse_bfloat16EEvT0_S2_lT1_PS3_16rocsparse_order_, .Lfunc_end37-_ZN9rocsparseL16valset_2d_kernelILj256Ei18rocsparse_bfloat16EEvT0_S2_lT1_PS3_16rocsparse_order_
                                        ; -- End function
	.set _ZN9rocsparseL16valset_2d_kernelILj256Ei18rocsparse_bfloat16EEvT0_S2_lT1_PS3_16rocsparse_order_.num_vgpr, 6
	.set _ZN9rocsparseL16valset_2d_kernelILj256Ei18rocsparse_bfloat16EEvT0_S2_lT1_PS3_16rocsparse_order_.num_agpr, 0
	.set _ZN9rocsparseL16valset_2d_kernelILj256Ei18rocsparse_bfloat16EEvT0_S2_lT1_PS3_16rocsparse_order_.numbered_sgpr, 9
	.set _ZN9rocsparseL16valset_2d_kernelILj256Ei18rocsparse_bfloat16EEvT0_S2_lT1_PS3_16rocsparse_order_.num_named_barrier, 0
	.set _ZN9rocsparseL16valset_2d_kernelILj256Ei18rocsparse_bfloat16EEvT0_S2_lT1_PS3_16rocsparse_order_.private_seg_size, 0
	.set _ZN9rocsparseL16valset_2d_kernelILj256Ei18rocsparse_bfloat16EEvT0_S2_lT1_PS3_16rocsparse_order_.uses_vcc, 1
	.set _ZN9rocsparseL16valset_2d_kernelILj256Ei18rocsparse_bfloat16EEvT0_S2_lT1_PS3_16rocsparse_order_.uses_flat_scratch, 0
	.set _ZN9rocsparseL16valset_2d_kernelILj256Ei18rocsparse_bfloat16EEvT0_S2_lT1_PS3_16rocsparse_order_.has_dyn_sized_stack, 0
	.set _ZN9rocsparseL16valset_2d_kernelILj256Ei18rocsparse_bfloat16EEvT0_S2_lT1_PS3_16rocsparse_order_.has_recursion, 0
	.set _ZN9rocsparseL16valset_2d_kernelILj256Ei18rocsparse_bfloat16EEvT0_S2_lT1_PS3_16rocsparse_order_.has_indirect_call, 0
	.section	.AMDGPU.csdata,"",@progbits
; Kernel info:
; codeLenInByte = 300
; TotalNumSgprs: 15
; NumVgprs: 6
; NumAgprs: 0
; TotalNumVgprs: 6
; ScratchSize: 0
; MemoryBound: 0
; FloatMode: 240
; IeeeMode: 1
; LDSByteSize: 0 bytes/workgroup (compile time only)
; SGPRBlocks: 1
; VGPRBlocks: 0
; NumSGPRsForWavesPerEU: 15
; NumVGPRsForWavesPerEU: 6
; AccumOffset: 8
; Occupancy: 8
; WaveLimiterHint : 0
; COMPUTE_PGM_RSRC2:SCRATCH_EN: 0
; COMPUTE_PGM_RSRC2:USER_SGPR: 2
; COMPUTE_PGM_RSRC2:TRAP_HANDLER: 0
; COMPUTE_PGM_RSRC2:TGID_X_EN: 1
; COMPUTE_PGM_RSRC2:TGID_Y_EN: 0
; COMPUTE_PGM_RSRC2:TGID_Z_EN: 0
; COMPUTE_PGM_RSRC2:TIDIG_COMP_CNT: 0
; COMPUTE_PGM_RSRC3_GFX90A:ACCUM_OFFSET: 1
; COMPUTE_PGM_RSRC3_GFX90A:TG_SPLIT: 0
	.section	.text._ZN9rocsparseL16valset_2d_kernelILj256EifEEvT0_S1_lT1_PS2_16rocsparse_order_,"axG",@progbits,_ZN9rocsparseL16valset_2d_kernelILj256EifEEvT0_S1_lT1_PS2_16rocsparse_order_,comdat
	.globl	_ZN9rocsparseL16valset_2d_kernelILj256EifEEvT0_S1_lT1_PS2_16rocsparse_order_ ; -- Begin function _ZN9rocsparseL16valset_2d_kernelILj256EifEEvT0_S1_lT1_PS2_16rocsparse_order_
	.p2align	8
	.type	_ZN9rocsparseL16valset_2d_kernelILj256EifEEvT0_S1_lT1_PS2_16rocsparse_order_,@function
_ZN9rocsparseL16valset_2d_kernelILj256EifEEvT0_S1_lT1_PS2_16rocsparse_order_: ; @_ZN9rocsparseL16valset_2d_kernelILj256EifEEvT0_S1_lT1_PS2_16rocsparse_order_
; %bb.0:
	s_load_dwordx2 s[4:5], s[0:1], 0x0
	v_lshl_or_b32 v0, s2, 8, v0
	s_waitcnt lgkmcnt(0)
	s_mul_i32 s2, s5, s4
	v_cmp_gt_i32_e32 vcc, s2, v0
	s_and_saveexec_b64 s[2:3], vcc
	s_cbranch_execz .LBB38_2
; %bb.1:
	s_load_dword s2, s[0:1], 0x20
	v_sub_u32_e32 v2, 0, v0
	v_max_i32_e32 v2, v0, v2
	s_waitcnt lgkmcnt(0)
	s_cmp_eq_u32 s2, 1
	s_cselect_b32 s6, s4, s5
	s_abs_i32 s7, s6
	v_cvt_f32_u32_e32 v1, s7
	s_load_dwordx2 s[2:3], s[0:1], 0x8
	s_load_dword s8, s[0:1], 0x10
	s_load_dwordx2 s[4:5], s[0:1], 0x18
	s_sub_i32 s0, 0, s7
	v_xor_b32_e32 v3, s6, v0
	v_rcp_iflag_f32_e32 v1, v1
	v_ashrrev_i32_e32 v3, 31, v3
	v_mul_f32_e32 v1, 0x4f7ffffe, v1
	v_cvt_u32_f32_e32 v1, v1
	v_mul_lo_u32 v4, s0, v1
	v_mul_hi_u32 v4, v1, v4
	v_add_u32_e32 v1, v1, v4
	v_mul_hi_u32 v1, v2, v1
	v_mul_lo_u32 v4, v1, s7
	v_sub_u32_e32 v2, v2, v4
	v_add_u32_e32 v5, 1, v1
	v_cmp_le_u32_e32 vcc, s7, v2
	v_subrev_u32_e32 v4, s7, v2
	s_nop 0
	v_cndmask_b32_e32 v1, v1, v5, vcc
	v_cndmask_b32_e32 v2, v2, v4, vcc
	v_add_u32_e32 v4, 1, v1
	v_cmp_le_u32_e32 vcc, s7, v2
	s_nop 1
	v_cndmask_b32_e32 v1, v1, v4, vcc
	v_xor_b32_e32 v1, v1, v3
	v_sub_u32_e32 v2, v1, v3
	v_ashrrev_i32_e32 v3, 31, v2
	v_mul_lo_u32 v1, v2, s6
	s_waitcnt lgkmcnt(0)
	v_mul_lo_u32 v4, s2, v3
	v_mul_lo_u32 v5, s3, v2
	v_mad_u64_u32 v[2:3], s[0:1], s2, v2, 0
	v_sub_u32_e32 v0, v0, v1
	v_add3_u32 v3, v3, v4, v5
	v_ashrrev_i32_e32 v1, 31, v0
	v_lshl_add_u64 v[2:3], v[2:3], 2, s[4:5]
	v_lshl_add_u64 v[0:1], v[0:1], 2, v[2:3]
	v_mov_b32_e32 v2, s8
	global_store_dword v[0:1], v2, off
.LBB38_2:
	s_endpgm
	.section	.rodata,"a",@progbits
	.p2align	6, 0x0
	.amdhsa_kernel _ZN9rocsparseL16valset_2d_kernelILj256EifEEvT0_S1_lT1_PS2_16rocsparse_order_
		.amdhsa_group_segment_fixed_size 0
		.amdhsa_private_segment_fixed_size 0
		.amdhsa_kernarg_size 36
		.amdhsa_user_sgpr_count 2
		.amdhsa_user_sgpr_dispatch_ptr 0
		.amdhsa_user_sgpr_queue_ptr 0
		.amdhsa_user_sgpr_kernarg_segment_ptr 1
		.amdhsa_user_sgpr_dispatch_id 0
		.amdhsa_user_sgpr_kernarg_preload_length 0
		.amdhsa_user_sgpr_kernarg_preload_offset 0
		.amdhsa_user_sgpr_private_segment_size 0
		.amdhsa_uses_dynamic_stack 0
		.amdhsa_enable_private_segment 0
		.amdhsa_system_sgpr_workgroup_id_x 1
		.amdhsa_system_sgpr_workgroup_id_y 0
		.amdhsa_system_sgpr_workgroup_id_z 0
		.amdhsa_system_sgpr_workgroup_info 0
		.amdhsa_system_vgpr_workitem_id 0
		.amdhsa_next_free_vgpr 6
		.amdhsa_next_free_sgpr 9
		.amdhsa_accum_offset 8
		.amdhsa_reserve_vcc 1
		.amdhsa_float_round_mode_32 0
		.amdhsa_float_round_mode_16_64 0
		.amdhsa_float_denorm_mode_32 3
		.amdhsa_float_denorm_mode_16_64 3
		.amdhsa_dx10_clamp 1
		.amdhsa_ieee_mode 1
		.amdhsa_fp16_overflow 0
		.amdhsa_tg_split 0
		.amdhsa_exception_fp_ieee_invalid_op 0
		.amdhsa_exception_fp_denorm_src 0
		.amdhsa_exception_fp_ieee_div_zero 0
		.amdhsa_exception_fp_ieee_overflow 0
		.amdhsa_exception_fp_ieee_underflow 0
		.amdhsa_exception_fp_ieee_inexact 0
		.amdhsa_exception_int_div_zero 0
	.end_amdhsa_kernel
	.section	.text._ZN9rocsparseL16valset_2d_kernelILj256EifEEvT0_S1_lT1_PS2_16rocsparse_order_,"axG",@progbits,_ZN9rocsparseL16valset_2d_kernelILj256EifEEvT0_S1_lT1_PS2_16rocsparse_order_,comdat
.Lfunc_end38:
	.size	_ZN9rocsparseL16valset_2d_kernelILj256EifEEvT0_S1_lT1_PS2_16rocsparse_order_, .Lfunc_end38-_ZN9rocsparseL16valset_2d_kernelILj256EifEEvT0_S1_lT1_PS2_16rocsparse_order_
                                        ; -- End function
	.set _ZN9rocsparseL16valset_2d_kernelILj256EifEEvT0_S1_lT1_PS2_16rocsparse_order_.num_vgpr, 6
	.set _ZN9rocsparseL16valset_2d_kernelILj256EifEEvT0_S1_lT1_PS2_16rocsparse_order_.num_agpr, 0
	.set _ZN9rocsparseL16valset_2d_kernelILj256EifEEvT0_S1_lT1_PS2_16rocsparse_order_.numbered_sgpr, 9
	.set _ZN9rocsparseL16valset_2d_kernelILj256EifEEvT0_S1_lT1_PS2_16rocsparse_order_.num_named_barrier, 0
	.set _ZN9rocsparseL16valset_2d_kernelILj256EifEEvT0_S1_lT1_PS2_16rocsparse_order_.private_seg_size, 0
	.set _ZN9rocsparseL16valset_2d_kernelILj256EifEEvT0_S1_lT1_PS2_16rocsparse_order_.uses_vcc, 1
	.set _ZN9rocsparseL16valset_2d_kernelILj256EifEEvT0_S1_lT1_PS2_16rocsparse_order_.uses_flat_scratch, 0
	.set _ZN9rocsparseL16valset_2d_kernelILj256EifEEvT0_S1_lT1_PS2_16rocsparse_order_.has_dyn_sized_stack, 0
	.set _ZN9rocsparseL16valset_2d_kernelILj256EifEEvT0_S1_lT1_PS2_16rocsparse_order_.has_recursion, 0
	.set _ZN9rocsparseL16valset_2d_kernelILj256EifEEvT0_S1_lT1_PS2_16rocsparse_order_.has_indirect_call, 0
	.section	.AMDGPU.csdata,"",@progbits
; Kernel info:
; codeLenInByte = 300
; TotalNumSgprs: 15
; NumVgprs: 6
; NumAgprs: 0
; TotalNumVgprs: 6
; ScratchSize: 0
; MemoryBound: 0
; FloatMode: 240
; IeeeMode: 1
; LDSByteSize: 0 bytes/workgroup (compile time only)
; SGPRBlocks: 1
; VGPRBlocks: 0
; NumSGPRsForWavesPerEU: 15
; NumVGPRsForWavesPerEU: 6
; AccumOffset: 8
; Occupancy: 8
; WaveLimiterHint : 0
; COMPUTE_PGM_RSRC2:SCRATCH_EN: 0
; COMPUTE_PGM_RSRC2:USER_SGPR: 2
; COMPUTE_PGM_RSRC2:TRAP_HANDLER: 0
; COMPUTE_PGM_RSRC2:TGID_X_EN: 1
; COMPUTE_PGM_RSRC2:TGID_Y_EN: 0
; COMPUTE_PGM_RSRC2:TGID_Z_EN: 0
; COMPUTE_PGM_RSRC2:TIDIG_COMP_CNT: 0
; COMPUTE_PGM_RSRC3_GFX90A:ACCUM_OFFSET: 1
; COMPUTE_PGM_RSRC3_GFX90A:TG_SPLIT: 0
	.section	.text._ZN9rocsparseL16valset_2d_kernelILj256EidEEvT0_S1_lT1_PS2_16rocsparse_order_,"axG",@progbits,_ZN9rocsparseL16valset_2d_kernelILj256EidEEvT0_S1_lT1_PS2_16rocsparse_order_,comdat
	.globl	_ZN9rocsparseL16valset_2d_kernelILj256EidEEvT0_S1_lT1_PS2_16rocsparse_order_ ; -- Begin function _ZN9rocsparseL16valset_2d_kernelILj256EidEEvT0_S1_lT1_PS2_16rocsparse_order_
	.p2align	8
	.type	_ZN9rocsparseL16valset_2d_kernelILj256EidEEvT0_S1_lT1_PS2_16rocsparse_order_,@function
_ZN9rocsparseL16valset_2d_kernelILj256EidEEvT0_S1_lT1_PS2_16rocsparse_order_: ; @_ZN9rocsparseL16valset_2d_kernelILj256EidEEvT0_S1_lT1_PS2_16rocsparse_order_
; %bb.0:
	s_load_dwordx2 s[4:5], s[0:1], 0x0
	v_lshl_or_b32 v0, s2, 8, v0
	s_waitcnt lgkmcnt(0)
	s_mul_i32 s2, s5, s4
	v_cmp_gt_i32_e32 vcc, s2, v0
	s_and_saveexec_b64 s[2:3], vcc
	s_cbranch_execz .LBB39_2
; %bb.1:
	s_load_dword s2, s[0:1], 0x20
	v_sub_u32_e32 v2, 0, v0
	v_max_i32_e32 v2, v0, v2
	s_waitcnt lgkmcnt(0)
	s_cmp_eq_u32 s2, 1
	s_cselect_b32 s8, s4, s5
	s_abs_i32 s9, s8
	v_cvt_f32_u32_e32 v1, s9
	s_load_dwordx4 s[4:7], s[0:1], 0x8
	s_load_dwordx2 s[2:3], s[0:1], 0x18
	s_sub_i32 s0, 0, s9
	v_xor_b32_e32 v3, s8, v0
	v_rcp_iflag_f32_e32 v1, v1
	v_ashrrev_i32_e32 v3, 31, v3
	s_waitcnt lgkmcnt(0)
	v_mov_b32_e32 v6, s6
	v_mov_b32_e32 v7, s7
	v_mul_f32_e32 v1, 0x4f7ffffe, v1
	v_cvt_u32_f32_e32 v1, v1
	v_mul_lo_u32 v4, s0, v1
	v_mul_hi_u32 v4, v1, v4
	v_add_u32_e32 v1, v1, v4
	v_mul_hi_u32 v1, v2, v1
	v_mul_lo_u32 v4, v1, s9
	v_sub_u32_e32 v2, v2, v4
	v_add_u32_e32 v5, 1, v1
	v_cmp_le_u32_e32 vcc, s9, v2
	v_subrev_u32_e32 v4, s9, v2
	s_nop 0
	v_cndmask_b32_e32 v1, v1, v5, vcc
	v_cndmask_b32_e32 v2, v2, v4, vcc
	v_add_u32_e32 v4, 1, v1
	v_cmp_le_u32_e32 vcc, s9, v2
	s_nop 1
	v_cndmask_b32_e32 v1, v1, v4, vcc
	v_xor_b32_e32 v1, v1, v3
	v_sub_u32_e32 v2, v1, v3
	v_ashrrev_i32_e32 v3, 31, v2
	v_mul_lo_u32 v1, v2, s8
	v_mul_lo_u32 v4, s4, v3
	;; [unrolled: 1-line block ×3, first 2 shown]
	v_mad_u64_u32 v[2:3], s[0:1], s4, v2, 0
	v_sub_u32_e32 v0, v0, v1
	v_add3_u32 v3, v3, v4, v5
	v_ashrrev_i32_e32 v1, 31, v0
	v_lshl_add_u64 v[2:3], v[2:3], 3, s[2:3]
	v_lshl_add_u64 v[0:1], v[0:1], 3, v[2:3]
	global_store_dwordx2 v[0:1], v[6:7], off
.LBB39_2:
	s_endpgm
	.section	.rodata,"a",@progbits
	.p2align	6, 0x0
	.amdhsa_kernel _ZN9rocsparseL16valset_2d_kernelILj256EidEEvT0_S1_lT1_PS2_16rocsparse_order_
		.amdhsa_group_segment_fixed_size 0
		.amdhsa_private_segment_fixed_size 0
		.amdhsa_kernarg_size 36
		.amdhsa_user_sgpr_count 2
		.amdhsa_user_sgpr_dispatch_ptr 0
		.amdhsa_user_sgpr_queue_ptr 0
		.amdhsa_user_sgpr_kernarg_segment_ptr 1
		.amdhsa_user_sgpr_dispatch_id 0
		.amdhsa_user_sgpr_kernarg_preload_length 0
		.amdhsa_user_sgpr_kernarg_preload_offset 0
		.amdhsa_user_sgpr_private_segment_size 0
		.amdhsa_uses_dynamic_stack 0
		.amdhsa_enable_private_segment 0
		.amdhsa_system_sgpr_workgroup_id_x 1
		.amdhsa_system_sgpr_workgroup_id_y 0
		.amdhsa_system_sgpr_workgroup_id_z 0
		.amdhsa_system_sgpr_workgroup_info 0
		.amdhsa_system_vgpr_workitem_id 0
		.amdhsa_next_free_vgpr 8
		.amdhsa_next_free_sgpr 10
		.amdhsa_accum_offset 8
		.amdhsa_reserve_vcc 1
		.amdhsa_float_round_mode_32 0
		.amdhsa_float_round_mode_16_64 0
		.amdhsa_float_denorm_mode_32 3
		.amdhsa_float_denorm_mode_16_64 3
		.amdhsa_dx10_clamp 1
		.amdhsa_ieee_mode 1
		.amdhsa_fp16_overflow 0
		.amdhsa_tg_split 0
		.amdhsa_exception_fp_ieee_invalid_op 0
		.amdhsa_exception_fp_denorm_src 0
		.amdhsa_exception_fp_ieee_div_zero 0
		.amdhsa_exception_fp_ieee_overflow 0
		.amdhsa_exception_fp_ieee_underflow 0
		.amdhsa_exception_fp_ieee_inexact 0
		.amdhsa_exception_int_div_zero 0
	.end_amdhsa_kernel
	.section	.text._ZN9rocsparseL16valset_2d_kernelILj256EidEEvT0_S1_lT1_PS2_16rocsparse_order_,"axG",@progbits,_ZN9rocsparseL16valset_2d_kernelILj256EidEEvT0_S1_lT1_PS2_16rocsparse_order_,comdat
.Lfunc_end39:
	.size	_ZN9rocsparseL16valset_2d_kernelILj256EidEEvT0_S1_lT1_PS2_16rocsparse_order_, .Lfunc_end39-_ZN9rocsparseL16valset_2d_kernelILj256EidEEvT0_S1_lT1_PS2_16rocsparse_order_
                                        ; -- End function
	.set _ZN9rocsparseL16valset_2d_kernelILj256EidEEvT0_S1_lT1_PS2_16rocsparse_order_.num_vgpr, 8
	.set _ZN9rocsparseL16valset_2d_kernelILj256EidEEvT0_S1_lT1_PS2_16rocsparse_order_.num_agpr, 0
	.set _ZN9rocsparseL16valset_2d_kernelILj256EidEEvT0_S1_lT1_PS2_16rocsparse_order_.numbered_sgpr, 10
	.set _ZN9rocsparseL16valset_2d_kernelILj256EidEEvT0_S1_lT1_PS2_16rocsparse_order_.num_named_barrier, 0
	.set _ZN9rocsparseL16valset_2d_kernelILj256EidEEvT0_S1_lT1_PS2_16rocsparse_order_.private_seg_size, 0
	.set _ZN9rocsparseL16valset_2d_kernelILj256EidEEvT0_S1_lT1_PS2_16rocsparse_order_.uses_vcc, 1
	.set _ZN9rocsparseL16valset_2d_kernelILj256EidEEvT0_S1_lT1_PS2_16rocsparse_order_.uses_flat_scratch, 0
	.set _ZN9rocsparseL16valset_2d_kernelILj256EidEEvT0_S1_lT1_PS2_16rocsparse_order_.has_dyn_sized_stack, 0
	.set _ZN9rocsparseL16valset_2d_kernelILj256EidEEvT0_S1_lT1_PS2_16rocsparse_order_.has_recursion, 0
	.set _ZN9rocsparseL16valset_2d_kernelILj256EidEEvT0_S1_lT1_PS2_16rocsparse_order_.has_indirect_call, 0
	.section	.AMDGPU.csdata,"",@progbits
; Kernel info:
; codeLenInByte = 296
; TotalNumSgprs: 16
; NumVgprs: 8
; NumAgprs: 0
; TotalNumVgprs: 8
; ScratchSize: 0
; MemoryBound: 0
; FloatMode: 240
; IeeeMode: 1
; LDSByteSize: 0 bytes/workgroup (compile time only)
; SGPRBlocks: 1
; VGPRBlocks: 0
; NumSGPRsForWavesPerEU: 16
; NumVGPRsForWavesPerEU: 8
; AccumOffset: 8
; Occupancy: 8
; WaveLimiterHint : 0
; COMPUTE_PGM_RSRC2:SCRATCH_EN: 0
; COMPUTE_PGM_RSRC2:USER_SGPR: 2
; COMPUTE_PGM_RSRC2:TRAP_HANDLER: 0
; COMPUTE_PGM_RSRC2:TGID_X_EN: 1
; COMPUTE_PGM_RSRC2:TGID_Y_EN: 0
; COMPUTE_PGM_RSRC2:TGID_Z_EN: 0
; COMPUTE_PGM_RSRC2:TIDIG_COMP_CNT: 0
; COMPUTE_PGM_RSRC3_GFX90A:ACCUM_OFFSET: 1
; COMPUTE_PGM_RSRC3_GFX90A:TG_SPLIT: 0
	.section	.text._ZN9rocsparseL16valset_2d_kernelILj256Ei21rocsparse_complex_numIfEEEvT0_S3_lT1_PS4_16rocsparse_order_,"axG",@progbits,_ZN9rocsparseL16valset_2d_kernelILj256Ei21rocsparse_complex_numIfEEEvT0_S3_lT1_PS4_16rocsparse_order_,comdat
	.globl	_ZN9rocsparseL16valset_2d_kernelILj256Ei21rocsparse_complex_numIfEEEvT0_S3_lT1_PS4_16rocsparse_order_ ; -- Begin function _ZN9rocsparseL16valset_2d_kernelILj256Ei21rocsparse_complex_numIfEEEvT0_S3_lT1_PS4_16rocsparse_order_
	.p2align	8
	.type	_ZN9rocsparseL16valset_2d_kernelILj256Ei21rocsparse_complex_numIfEEEvT0_S3_lT1_PS4_16rocsparse_order_,@function
_ZN9rocsparseL16valset_2d_kernelILj256Ei21rocsparse_complex_numIfEEEvT0_S3_lT1_PS4_16rocsparse_order_: ; @_ZN9rocsparseL16valset_2d_kernelILj256Ei21rocsparse_complex_numIfEEEvT0_S3_lT1_PS4_16rocsparse_order_
; %bb.0:
	s_load_dwordx2 s[4:5], s[0:1], 0x0
	v_lshl_or_b32 v0, s2, 8, v0
	s_waitcnt lgkmcnt(0)
	s_mul_i32 s2, s5, s4
	v_cmp_gt_i32_e32 vcc, s2, v0
	s_and_saveexec_b64 s[2:3], vcc
	s_cbranch_execz .LBB40_2
; %bb.1:
	s_load_dword s2, s[0:1], 0x20
	v_sub_u32_e32 v2, 0, v0
	v_max_i32_e32 v2, v0, v2
	s_waitcnt lgkmcnt(0)
	s_cmp_eq_u32 s2, 1
	s_cselect_b32 s8, s4, s5
	s_abs_i32 s9, s8
	v_cvt_f32_u32_e32 v1, s9
	s_load_dwordx4 s[4:7], s[0:1], 0x8
	s_load_dwordx2 s[2:3], s[0:1], 0x18
	s_sub_i32 s0, 0, s9
	v_xor_b32_e32 v3, s8, v0
	v_rcp_iflag_f32_e32 v1, v1
	v_ashrrev_i32_e32 v3, 31, v3
	v_mul_f32_e32 v1, 0x4f7ffffe, v1
	v_cvt_u32_f32_e32 v1, v1
	v_mul_lo_u32 v4, s0, v1
	v_mul_hi_u32 v4, v1, v4
	v_add_u32_e32 v1, v1, v4
	v_mul_hi_u32 v1, v2, v1
	v_mul_lo_u32 v4, v1, s9
	v_sub_u32_e32 v2, v2, v4
	v_add_u32_e32 v5, 1, v1
	v_cmp_le_u32_e32 vcc, s9, v2
	v_subrev_u32_e32 v4, s9, v2
	s_nop 0
	v_cndmask_b32_e32 v1, v1, v5, vcc
	v_cndmask_b32_e32 v2, v2, v4, vcc
	v_add_u32_e32 v4, 1, v1
	v_cmp_le_u32_e32 vcc, s9, v2
	s_nop 1
	v_cndmask_b32_e32 v1, v1, v4, vcc
	v_xor_b32_e32 v1, v1, v3
	v_sub_u32_e32 v2, v1, v3
	v_ashrrev_i32_e32 v3, 31, v2
	v_mul_lo_u32 v1, v2, s8
	s_waitcnt lgkmcnt(0)
	v_mul_lo_u32 v4, s4, v3
	v_mul_lo_u32 v5, s5, v2
	v_mad_u64_u32 v[2:3], s[0:1], s4, v2, 0
	v_sub_u32_e32 v0, v0, v1
	v_add3_u32 v3, v3, v4, v5
	v_ashrrev_i32_e32 v1, 31, v0
	v_lshl_add_u64 v[2:3], v[2:3], 3, s[2:3]
	v_lshl_add_u64 v[0:1], v[0:1], 3, v[2:3]
	v_mov_b64_e32 v[2:3], s[6:7]
	global_store_dwordx2 v[0:1], v[2:3], off
.LBB40_2:
	s_endpgm
	.section	.rodata,"a",@progbits
	.p2align	6, 0x0
	.amdhsa_kernel _ZN9rocsparseL16valset_2d_kernelILj256Ei21rocsparse_complex_numIfEEEvT0_S3_lT1_PS4_16rocsparse_order_
		.amdhsa_group_segment_fixed_size 0
		.amdhsa_private_segment_fixed_size 0
		.amdhsa_kernarg_size 36
		.amdhsa_user_sgpr_count 2
		.amdhsa_user_sgpr_dispatch_ptr 0
		.amdhsa_user_sgpr_queue_ptr 0
		.amdhsa_user_sgpr_kernarg_segment_ptr 1
		.amdhsa_user_sgpr_dispatch_id 0
		.amdhsa_user_sgpr_kernarg_preload_length 0
		.amdhsa_user_sgpr_kernarg_preload_offset 0
		.amdhsa_user_sgpr_private_segment_size 0
		.amdhsa_uses_dynamic_stack 0
		.amdhsa_enable_private_segment 0
		.amdhsa_system_sgpr_workgroup_id_x 1
		.amdhsa_system_sgpr_workgroup_id_y 0
		.amdhsa_system_sgpr_workgroup_id_z 0
		.amdhsa_system_sgpr_workgroup_info 0
		.amdhsa_system_vgpr_workitem_id 0
		.amdhsa_next_free_vgpr 6
		.amdhsa_next_free_sgpr 10
		.amdhsa_accum_offset 8
		.amdhsa_reserve_vcc 1
		.amdhsa_float_round_mode_32 0
		.amdhsa_float_round_mode_16_64 0
		.amdhsa_float_denorm_mode_32 3
		.amdhsa_float_denorm_mode_16_64 3
		.amdhsa_dx10_clamp 1
		.amdhsa_ieee_mode 1
		.amdhsa_fp16_overflow 0
		.amdhsa_tg_split 0
		.amdhsa_exception_fp_ieee_invalid_op 0
		.amdhsa_exception_fp_denorm_src 0
		.amdhsa_exception_fp_ieee_div_zero 0
		.amdhsa_exception_fp_ieee_overflow 0
		.amdhsa_exception_fp_ieee_underflow 0
		.amdhsa_exception_fp_ieee_inexact 0
		.amdhsa_exception_int_div_zero 0
	.end_amdhsa_kernel
	.section	.text._ZN9rocsparseL16valset_2d_kernelILj256Ei21rocsparse_complex_numIfEEEvT0_S3_lT1_PS4_16rocsparse_order_,"axG",@progbits,_ZN9rocsparseL16valset_2d_kernelILj256Ei21rocsparse_complex_numIfEEEvT0_S3_lT1_PS4_16rocsparse_order_,comdat
.Lfunc_end40:
	.size	_ZN9rocsparseL16valset_2d_kernelILj256Ei21rocsparse_complex_numIfEEEvT0_S3_lT1_PS4_16rocsparse_order_, .Lfunc_end40-_ZN9rocsparseL16valset_2d_kernelILj256Ei21rocsparse_complex_numIfEEEvT0_S3_lT1_PS4_16rocsparse_order_
                                        ; -- End function
	.set _ZN9rocsparseL16valset_2d_kernelILj256Ei21rocsparse_complex_numIfEEEvT0_S3_lT1_PS4_16rocsparse_order_.num_vgpr, 6
	.set _ZN9rocsparseL16valset_2d_kernelILj256Ei21rocsparse_complex_numIfEEEvT0_S3_lT1_PS4_16rocsparse_order_.num_agpr, 0
	.set _ZN9rocsparseL16valset_2d_kernelILj256Ei21rocsparse_complex_numIfEEEvT0_S3_lT1_PS4_16rocsparse_order_.numbered_sgpr, 10
	.set _ZN9rocsparseL16valset_2d_kernelILj256Ei21rocsparse_complex_numIfEEEvT0_S3_lT1_PS4_16rocsparse_order_.num_named_barrier, 0
	.set _ZN9rocsparseL16valset_2d_kernelILj256Ei21rocsparse_complex_numIfEEEvT0_S3_lT1_PS4_16rocsparse_order_.private_seg_size, 0
	.set _ZN9rocsparseL16valset_2d_kernelILj256Ei21rocsparse_complex_numIfEEEvT0_S3_lT1_PS4_16rocsparse_order_.uses_vcc, 1
	.set _ZN9rocsparseL16valset_2d_kernelILj256Ei21rocsparse_complex_numIfEEEvT0_S3_lT1_PS4_16rocsparse_order_.uses_flat_scratch, 0
	.set _ZN9rocsparseL16valset_2d_kernelILj256Ei21rocsparse_complex_numIfEEEvT0_S3_lT1_PS4_16rocsparse_order_.has_dyn_sized_stack, 0
	.set _ZN9rocsparseL16valset_2d_kernelILj256Ei21rocsparse_complex_numIfEEEvT0_S3_lT1_PS4_16rocsparse_order_.has_recursion, 0
	.set _ZN9rocsparseL16valset_2d_kernelILj256Ei21rocsparse_complex_numIfEEEvT0_S3_lT1_PS4_16rocsparse_order_.has_indirect_call, 0
	.section	.AMDGPU.csdata,"",@progbits
; Kernel info:
; codeLenInByte = 292
; TotalNumSgprs: 16
; NumVgprs: 6
; NumAgprs: 0
; TotalNumVgprs: 6
; ScratchSize: 0
; MemoryBound: 0
; FloatMode: 240
; IeeeMode: 1
; LDSByteSize: 0 bytes/workgroup (compile time only)
; SGPRBlocks: 1
; VGPRBlocks: 0
; NumSGPRsForWavesPerEU: 16
; NumVGPRsForWavesPerEU: 6
; AccumOffset: 8
; Occupancy: 8
; WaveLimiterHint : 0
; COMPUTE_PGM_RSRC2:SCRATCH_EN: 0
; COMPUTE_PGM_RSRC2:USER_SGPR: 2
; COMPUTE_PGM_RSRC2:TRAP_HANDLER: 0
; COMPUTE_PGM_RSRC2:TGID_X_EN: 1
; COMPUTE_PGM_RSRC2:TGID_Y_EN: 0
; COMPUTE_PGM_RSRC2:TGID_Z_EN: 0
; COMPUTE_PGM_RSRC2:TIDIG_COMP_CNT: 0
; COMPUTE_PGM_RSRC3_GFX90A:ACCUM_OFFSET: 1
; COMPUTE_PGM_RSRC3_GFX90A:TG_SPLIT: 0
	.section	.text._ZN9rocsparseL16valset_2d_kernelILj256Ei21rocsparse_complex_numIdEEEvT0_S3_lT1_PS4_16rocsparse_order_,"axG",@progbits,_ZN9rocsparseL16valset_2d_kernelILj256Ei21rocsparse_complex_numIdEEEvT0_S3_lT1_PS4_16rocsparse_order_,comdat
	.globl	_ZN9rocsparseL16valset_2d_kernelILj256Ei21rocsparse_complex_numIdEEEvT0_S3_lT1_PS4_16rocsparse_order_ ; -- Begin function _ZN9rocsparseL16valset_2d_kernelILj256Ei21rocsparse_complex_numIdEEEvT0_S3_lT1_PS4_16rocsparse_order_
	.p2align	8
	.type	_ZN9rocsparseL16valset_2d_kernelILj256Ei21rocsparse_complex_numIdEEEvT0_S3_lT1_PS4_16rocsparse_order_,@function
_ZN9rocsparseL16valset_2d_kernelILj256Ei21rocsparse_complex_numIdEEEvT0_S3_lT1_PS4_16rocsparse_order_: ; @_ZN9rocsparseL16valset_2d_kernelILj256Ei21rocsparse_complex_numIdEEEvT0_S3_lT1_PS4_16rocsparse_order_
; %bb.0:
	s_load_dwordx2 s[4:5], s[0:1], 0x0
	v_lshl_or_b32 v0, s2, 8, v0
	s_waitcnt lgkmcnt(0)
	s_mul_i32 s2, s5, s4
	v_cmp_gt_i32_e32 vcc, s2, v0
	s_and_saveexec_b64 s[2:3], vcc
	s_cbranch_execz .LBB41_2
; %bb.1:
	s_load_dword s2, s[0:1], 0x28
	v_sub_u32_e32 v2, 0, v0
	v_max_i32_e32 v2, v0, v2
	s_waitcnt lgkmcnt(0)
	s_cmp_eq_u32 s2, 1
	s_cselect_b32 s10, s4, s5
	s_abs_i32 s11, s10
	v_cvt_f32_u32_e32 v1, s11
	s_load_dwordx2 s[2:3], s[0:1], 0x20
	s_load_dwordx2 s[8:9], s[0:1], 0x8
	s_load_dwordx4 s[4:7], s[0:1], 0x10
	s_sub_i32 s0, 0, s11
	v_rcp_iflag_f32_e32 v1, v1
	v_xor_b32_e32 v3, s10, v0
	v_ashrrev_i32_e32 v3, 31, v3
	v_mul_f32_e32 v1, 0x4f7ffffe, v1
	v_cvt_u32_f32_e32 v1, v1
	v_mul_lo_u32 v4, s0, v1
	v_mul_hi_u32 v4, v1, v4
	v_add_u32_e32 v1, v1, v4
	v_mul_hi_u32 v1, v2, v1
	v_mul_lo_u32 v4, v1, s11
	v_sub_u32_e32 v2, v2, v4
	v_add_u32_e32 v5, 1, v1
	v_cmp_le_u32_e32 vcc, s11, v2
	v_subrev_u32_e32 v4, s11, v2
	s_nop 0
	v_cndmask_b32_e32 v1, v1, v5, vcc
	v_cndmask_b32_e32 v2, v2, v4, vcc
	v_add_u32_e32 v4, 1, v1
	v_cmp_le_u32_e32 vcc, s11, v2
	s_nop 1
	v_cndmask_b32_e32 v1, v1, v4, vcc
	v_xor_b32_e32 v1, v1, v3
	v_sub_u32_e32 v2, v1, v3
	v_ashrrev_i32_e32 v3, 31, v2
	v_mul_lo_u32 v1, v2, s10
	s_waitcnt lgkmcnt(0)
	v_mul_lo_u32 v4, s8, v3
	v_mul_lo_u32 v5, s9, v2
	v_mad_u64_u32 v[2:3], s[0:1], s8, v2, 0
	v_sub_u32_e32 v0, v0, v1
	v_add3_u32 v3, v3, v4, v5
	v_ashrrev_i32_e32 v1, 31, v0
	v_lshl_add_u64 v[2:3], v[2:3], 4, s[2:3]
	v_lshl_add_u64 v[0:1], v[0:1], 4, v[2:3]
	v_mov_b64_e32 v[2:3], s[4:5]
	v_mov_b64_e32 v[4:5], s[6:7]
	global_store_dwordx4 v[0:1], v[2:5], off
.LBB41_2:
	s_endpgm
	.section	.rodata,"a",@progbits
	.p2align	6, 0x0
	.amdhsa_kernel _ZN9rocsparseL16valset_2d_kernelILj256Ei21rocsparse_complex_numIdEEEvT0_S3_lT1_PS4_16rocsparse_order_
		.amdhsa_group_segment_fixed_size 0
		.amdhsa_private_segment_fixed_size 0
		.amdhsa_kernarg_size 44
		.amdhsa_user_sgpr_count 2
		.amdhsa_user_sgpr_dispatch_ptr 0
		.amdhsa_user_sgpr_queue_ptr 0
		.amdhsa_user_sgpr_kernarg_segment_ptr 1
		.amdhsa_user_sgpr_dispatch_id 0
		.amdhsa_user_sgpr_kernarg_preload_length 0
		.amdhsa_user_sgpr_kernarg_preload_offset 0
		.amdhsa_user_sgpr_private_segment_size 0
		.amdhsa_uses_dynamic_stack 0
		.amdhsa_enable_private_segment 0
		.amdhsa_system_sgpr_workgroup_id_x 1
		.amdhsa_system_sgpr_workgroup_id_y 0
		.amdhsa_system_sgpr_workgroup_id_z 0
		.amdhsa_system_sgpr_workgroup_info 0
		.amdhsa_system_vgpr_workitem_id 0
		.amdhsa_next_free_vgpr 6
		.amdhsa_next_free_sgpr 12
		.amdhsa_accum_offset 8
		.amdhsa_reserve_vcc 1
		.amdhsa_float_round_mode_32 0
		.amdhsa_float_round_mode_16_64 0
		.amdhsa_float_denorm_mode_32 3
		.amdhsa_float_denorm_mode_16_64 3
		.amdhsa_dx10_clamp 1
		.amdhsa_ieee_mode 1
		.amdhsa_fp16_overflow 0
		.amdhsa_tg_split 0
		.amdhsa_exception_fp_ieee_invalid_op 0
		.amdhsa_exception_fp_denorm_src 0
		.amdhsa_exception_fp_ieee_div_zero 0
		.amdhsa_exception_fp_ieee_overflow 0
		.amdhsa_exception_fp_ieee_underflow 0
		.amdhsa_exception_fp_ieee_inexact 0
		.amdhsa_exception_int_div_zero 0
	.end_amdhsa_kernel
	.section	.text._ZN9rocsparseL16valset_2d_kernelILj256Ei21rocsparse_complex_numIdEEEvT0_S3_lT1_PS4_16rocsparse_order_,"axG",@progbits,_ZN9rocsparseL16valset_2d_kernelILj256Ei21rocsparse_complex_numIdEEEvT0_S3_lT1_PS4_16rocsparse_order_,comdat
.Lfunc_end41:
	.size	_ZN9rocsparseL16valset_2d_kernelILj256Ei21rocsparse_complex_numIdEEEvT0_S3_lT1_PS4_16rocsparse_order_, .Lfunc_end41-_ZN9rocsparseL16valset_2d_kernelILj256Ei21rocsparse_complex_numIdEEEvT0_S3_lT1_PS4_16rocsparse_order_
                                        ; -- End function
	.set _ZN9rocsparseL16valset_2d_kernelILj256Ei21rocsparse_complex_numIdEEEvT0_S3_lT1_PS4_16rocsparse_order_.num_vgpr, 6
	.set _ZN9rocsparseL16valset_2d_kernelILj256Ei21rocsparse_complex_numIdEEEvT0_S3_lT1_PS4_16rocsparse_order_.num_agpr, 0
	.set _ZN9rocsparseL16valset_2d_kernelILj256Ei21rocsparse_complex_numIdEEEvT0_S3_lT1_PS4_16rocsparse_order_.numbered_sgpr, 12
	.set _ZN9rocsparseL16valset_2d_kernelILj256Ei21rocsparse_complex_numIdEEEvT0_S3_lT1_PS4_16rocsparse_order_.num_named_barrier, 0
	.set _ZN9rocsparseL16valset_2d_kernelILj256Ei21rocsparse_complex_numIdEEEvT0_S3_lT1_PS4_16rocsparse_order_.private_seg_size, 0
	.set _ZN9rocsparseL16valset_2d_kernelILj256Ei21rocsparse_complex_numIdEEEvT0_S3_lT1_PS4_16rocsparse_order_.uses_vcc, 1
	.set _ZN9rocsparseL16valset_2d_kernelILj256Ei21rocsparse_complex_numIdEEEvT0_S3_lT1_PS4_16rocsparse_order_.uses_flat_scratch, 0
	.set _ZN9rocsparseL16valset_2d_kernelILj256Ei21rocsparse_complex_numIdEEEvT0_S3_lT1_PS4_16rocsparse_order_.has_dyn_sized_stack, 0
	.set _ZN9rocsparseL16valset_2d_kernelILj256Ei21rocsparse_complex_numIdEEEvT0_S3_lT1_PS4_16rocsparse_order_.has_recursion, 0
	.set _ZN9rocsparseL16valset_2d_kernelILj256Ei21rocsparse_complex_numIdEEEvT0_S3_lT1_PS4_16rocsparse_order_.has_indirect_call, 0
	.section	.AMDGPU.csdata,"",@progbits
; Kernel info:
; codeLenInByte = 304
; TotalNumSgprs: 18
; NumVgprs: 6
; NumAgprs: 0
; TotalNumVgprs: 6
; ScratchSize: 0
; MemoryBound: 0
; FloatMode: 240
; IeeeMode: 1
; LDSByteSize: 0 bytes/workgroup (compile time only)
; SGPRBlocks: 2
; VGPRBlocks: 0
; NumSGPRsForWavesPerEU: 18
; NumVGPRsForWavesPerEU: 6
; AccumOffset: 8
; Occupancy: 8
; WaveLimiterHint : 0
; COMPUTE_PGM_RSRC2:SCRATCH_EN: 0
; COMPUTE_PGM_RSRC2:USER_SGPR: 2
; COMPUTE_PGM_RSRC2:TRAP_HANDLER: 0
; COMPUTE_PGM_RSRC2:TGID_X_EN: 1
; COMPUTE_PGM_RSRC2:TGID_Y_EN: 0
; COMPUTE_PGM_RSRC2:TGID_Z_EN: 0
; COMPUTE_PGM_RSRC2:TIDIG_COMP_CNT: 0
; COMPUTE_PGM_RSRC3_GFX90A:ACCUM_OFFSET: 1
; COMPUTE_PGM_RSRC3_GFX90A:TG_SPLIT: 0
	.section	.text._ZN9rocsparseL16valset_2d_kernelILj256ElDF16_EEvT0_S1_lT1_PS2_16rocsparse_order_,"axG",@progbits,_ZN9rocsparseL16valset_2d_kernelILj256ElDF16_EEvT0_S1_lT1_PS2_16rocsparse_order_,comdat
	.globl	_ZN9rocsparseL16valset_2d_kernelILj256ElDF16_EEvT0_S1_lT1_PS2_16rocsparse_order_ ; -- Begin function _ZN9rocsparseL16valset_2d_kernelILj256ElDF16_EEvT0_S1_lT1_PS2_16rocsparse_order_
	.p2align	8
	.type	_ZN9rocsparseL16valset_2d_kernelILj256ElDF16_EEvT0_S1_lT1_PS2_16rocsparse_order_,@function
_ZN9rocsparseL16valset_2d_kernelILj256ElDF16_EEvT0_S1_lT1_PS2_16rocsparse_order_: ; @_ZN9rocsparseL16valset_2d_kernelILj256ElDF16_EEvT0_S1_lT1_PS2_16rocsparse_order_
; %bb.0:
	s_load_dwordx4 s[4:7], s[0:1], 0x0
	v_lshl_or_b32 v0, s2, 8, v0
	v_mov_b32_e32 v1, 0
	s_waitcnt lgkmcnt(0)
	s_mul_i32 s2, s6, s5
	s_mul_hi_u32 s3, s6, s4
	s_add_i32 s2, s3, s2
	s_mul_i32 s3, s7, s4
	s_add_i32 s3, s2, s3
	s_mul_i32 s2, s6, s4
	v_cmp_gt_i64_e32 vcc, s[2:3], v[0:1]
	s_and_saveexec_b64 s[2:3], vcc
	s_cbranch_execz .LBB42_5
; %bb.1:
	s_load_dword s2, s[0:1], 0x28
	s_load_dwordx2 s[8:9], s[0:1], 0x10
	s_waitcnt lgkmcnt(0)
	s_cmp_eq_u32 s2, 1
	s_cselect_b32 s5, s5, s7
	s_cselect_b32 s14, s4, s6
	s_mov_b32 s4, 0
	s_cmp_lg_u64 s[4:5], 0
	s_cbranch_scc0 .LBB42_6
; %bb.2:
	s_ashr_i32 s6, s5, 31
	s_add_u32 s2, s14, s6
	s_mov_b32 s7, s6
	s_addc_u32 s3, s5, s6
	s_xor_b64 s[12:13], s[2:3], s[6:7]
	v_cvt_f32_u32_e32 v2, s12
	v_cvt_f32_u32_e32 v3, s13
	s_sub_u32 s4, 0, s12
	s_subb_u32 s7, 0, s13
	v_lshl_add_u64 v[4:5], v[0:1], 0, 0
	v_fmamk_f32 v2, v3, 0x4f800000, v2
	v_rcp_f32_e32 v2, v2
	s_nop 0
	v_mul_f32_e32 v2, 0x5f7ffffc, v2
	v_mul_f32_e32 v3, 0x2f800000, v2
	v_trunc_f32_e32 v3, v3
	v_fmamk_f32 v2, v3, 0xcf800000, v2
	v_cvt_u32_f32_e32 v3, v3
	v_cvt_u32_f32_e32 v2, v2
	v_readfirstlane_b32 s15, v3
	v_readfirstlane_b32 s2, v2
	s_mul_i32 s3, s4, s15
	s_mul_hi_u32 s17, s4, s2
	s_mul_i32 s16, s7, s2
	s_add_i32 s3, s17, s3
	s_add_i32 s3, s3, s16
	s_mul_i32 s18, s4, s2
	s_mul_i32 s17, s2, s3
	s_mul_hi_u32 s19, s2, s18
	s_mul_hi_u32 s16, s2, s3
	s_add_u32 s17, s19, s17
	s_addc_u32 s16, 0, s16
	s_mul_hi_u32 s20, s15, s18
	s_mul_i32 s18, s15, s18
	s_add_u32 s17, s17, s18
	s_mul_hi_u32 s19, s15, s3
	s_addc_u32 s16, s16, s20
	s_addc_u32 s17, s19, 0
	s_mul_i32 s3, s15, s3
	s_add_u32 s3, s16, s3
	s_addc_u32 s16, 0, s17
	s_add_u32 s17, s2, s3
	s_cselect_b64 s[2:3], -1, 0
	s_cmp_lg_u64 s[2:3], 0
	s_addc_u32 s15, s15, s16
	s_mul_i32 s2, s4, s15
	s_mul_hi_u32 s3, s4, s17
	s_add_i32 s2, s3, s2
	s_mul_i32 s7, s7, s17
	s_add_i32 s2, s2, s7
	s_mul_i32 s4, s4, s17
	s_mul_hi_u32 s7, s15, s4
	s_mul_i32 s16, s15, s4
	s_mul_i32 s19, s17, s2
	s_mul_hi_u32 s4, s17, s4
	s_mul_hi_u32 s18, s17, s2
	s_add_u32 s4, s4, s19
	s_addc_u32 s18, 0, s18
	s_add_u32 s4, s4, s16
	s_mul_hi_u32 s3, s15, s2
	s_addc_u32 s4, s18, s7
	s_addc_u32 s3, s3, 0
	s_mul_i32 s2, s15, s2
	s_add_u32 s2, s4, s2
	s_addc_u32 s4, 0, s3
	s_add_u32 s7, s17, s2
	s_cselect_b64 s[2:3], -1, 0
	s_cmp_lg_u64 s[2:3], 0
	s_addc_u32 s4, s15, s4
	v_mov_b32_e32 v3, 0
	v_mad_u64_u32 v[6:7], s[2:3], v4, s4, 0
	v_mul_hi_u32 v2, v4, s7
	v_lshl_add_u64 v[6:7], v[2:3], 0, v[6:7]
	v_mad_u64_u32 v[10:11], s[2:3], v5, s7, 0
	v_add_co_u32_e32 v1, vcc, v6, v10
	v_mad_u64_u32 v[8:9], s[2:3], v5, s4, 0
	s_nop 0
	v_addc_co_u32_e32 v2, vcc, v7, v11, vcc
	s_nop 1
	v_addc_co_u32_e32 v9, vcc, 0, v9, vcc
	v_lshl_add_u64 v[2:3], v[2:3], 0, v[8:9]
	v_mul_lo_u32 v1, s13, v2
	v_mul_lo_u32 v8, s12, v3
	v_mad_u64_u32 v[6:7], s[2:3], s12, v2, 0
	v_add3_u32 v1, v7, v8, v1
	v_sub_u32_e32 v7, v5, v1
	v_mov_b32_e32 v8, s13
	v_sub_co_u32_e32 v4, vcc, v4, v6
	s_nop 1
	v_subb_co_u32_e64 v6, s[2:3], v7, v8, vcc
	v_subrev_co_u32_e64 v7, s[2:3], s12, v4
	v_subb_co_u32_e32 v1, vcc, v5, v1, vcc
	s_nop 0
	v_subbrev_co_u32_e64 v6, s[2:3], 0, v6, s[2:3]
	v_cmp_le_u32_e64 s[2:3], s13, v6
	v_cmp_le_u32_e32 vcc, s13, v1
	s_nop 0
	v_cndmask_b32_e64 v8, 0, -1, s[2:3]
	v_cmp_le_u32_e64 s[2:3], s12, v7
	v_cndmask_b32_e64 v5, 0, -1, vcc
	v_cmp_le_u32_e32 vcc, s12, v4
	v_cndmask_b32_e64 v7, 0, -1, s[2:3]
	v_cmp_eq_u32_e64 s[2:3], s13, v6
	v_cndmask_b32_e64 v4, 0, -1, vcc
	v_cmp_eq_u32_e32 vcc, s13, v1
	v_cndmask_b32_e64 v10, v8, v7, s[2:3]
	v_lshl_add_u64 v[6:7], v[2:3], 0, 2
	v_lshl_add_u64 v[8:9], v[2:3], 0, 1
	v_cmp_ne_u32_e64 s[2:3], 0, v10
	v_cndmask_b32_e32 v1, v5, v4, vcc
	v_cmp_ne_u32_e32 vcc, 0, v1
	v_cndmask_b32_e64 v7, v9, v7, s[2:3]
	s_nop 0
	v_cndmask_b32_e32 v1, v3, v7, vcc
	v_cndmask_b32_e64 v3, v8, v6, s[2:3]
	v_cndmask_b32_e32 v2, v2, v3, vcc
	v_xor_b32_e32 v2, s6, v2
	v_xor_b32_e32 v1, s6, v1
	v_mov_b32_e32 v3, s6
	v_subrev_co_u32_e32 v2, vcc, s6, v2
	s_nop 1
	v_subb_co_u32_e32 v3, vcc, v1, v3, vcc
	s_cbranch_execnz .LBB42_4
.LBB42_3:
	v_cvt_f32_u32_e32 v1, s14
	s_sub_i32 s2, 0, s14
	v_rcp_iflag_f32_e32 v1, v1
	s_nop 0
	v_mul_f32_e32 v1, 0x4f7ffffe, v1
	v_cvt_u32_f32_e32 v1, v1
	v_mul_lo_u32 v2, s2, v1
	v_mul_hi_u32 v2, v1, v2
	v_add_u32_e32 v1, v1, v2
	v_mul_hi_u32 v1, v0, v1
	v_mul_lo_u32 v2, v1, s14
	v_sub_u32_e32 v2, v0, v2
	v_add_u32_e32 v3, 1, v1
	v_subrev_u32_e32 v4, s14, v2
	v_cmp_le_u32_e32 vcc, s14, v2
	s_nop 1
	v_cndmask_b32_e32 v2, v2, v4, vcc
	v_cndmask_b32_e32 v1, v1, v3, vcc
	v_add_u32_e32 v3, 1, v1
	v_cmp_le_u32_e32 vcc, s14, v2
	s_nop 1
	v_cndmask_b32_e32 v2, v1, v3, vcc
	v_mov_b32_e32 v3, 0
.LBB42_4:
	s_load_dword s4, s[0:1], 0x18
	s_load_dwordx2 s[2:3], s[0:1], 0x20
	v_mul_lo_u32 v1, v3, s14
	v_mul_lo_u32 v6, v2, s5
	v_mad_u64_u32 v[4:5], s[0:1], v2, s14, 0
	v_add3_u32 v1, v5, v6, v1
	v_sub_co_u32_e32 v0, vcc, v0, v4
	v_mul_lo_u32 v4, v3, s8
	s_nop 0
	v_subb_co_u32_e32 v1, vcc, 0, v1, vcc
	v_mul_lo_u32 v5, v2, s9
	v_mad_u64_u32 v[2:3], s[0:1], v2, s8, 0
	v_add3_u32 v3, v3, v5, v4
	s_waitcnt lgkmcnt(0)
	v_lshl_add_u64 v[0:1], v[0:1], 1, s[2:3]
	v_lshl_add_u64 v[0:1], v[2:3], 1, v[0:1]
	v_mov_b32_e32 v2, s4
	global_store_short v[0:1], v2, off
.LBB42_5:
	s_endpgm
.LBB42_6:
                                        ; implicit-def: $vgpr2_vgpr3
	s_branch .LBB42_3
	.section	.rodata,"a",@progbits
	.p2align	6, 0x0
	.amdhsa_kernel _ZN9rocsparseL16valset_2d_kernelILj256ElDF16_EEvT0_S1_lT1_PS2_16rocsparse_order_
		.amdhsa_group_segment_fixed_size 0
		.amdhsa_private_segment_fixed_size 0
		.amdhsa_kernarg_size 44
		.amdhsa_user_sgpr_count 2
		.amdhsa_user_sgpr_dispatch_ptr 0
		.amdhsa_user_sgpr_queue_ptr 0
		.amdhsa_user_sgpr_kernarg_segment_ptr 1
		.amdhsa_user_sgpr_dispatch_id 0
		.amdhsa_user_sgpr_kernarg_preload_length 0
		.amdhsa_user_sgpr_kernarg_preload_offset 0
		.amdhsa_user_sgpr_private_segment_size 0
		.amdhsa_uses_dynamic_stack 0
		.amdhsa_enable_private_segment 0
		.amdhsa_system_sgpr_workgroup_id_x 1
		.amdhsa_system_sgpr_workgroup_id_y 0
		.amdhsa_system_sgpr_workgroup_id_z 0
		.amdhsa_system_sgpr_workgroup_info 0
		.amdhsa_system_vgpr_workitem_id 0
		.amdhsa_next_free_vgpr 12
		.amdhsa_next_free_sgpr 21
		.amdhsa_accum_offset 12
		.amdhsa_reserve_vcc 1
		.amdhsa_float_round_mode_32 0
		.amdhsa_float_round_mode_16_64 0
		.amdhsa_float_denorm_mode_32 3
		.amdhsa_float_denorm_mode_16_64 3
		.amdhsa_dx10_clamp 1
		.amdhsa_ieee_mode 1
		.amdhsa_fp16_overflow 0
		.amdhsa_tg_split 0
		.amdhsa_exception_fp_ieee_invalid_op 0
		.amdhsa_exception_fp_denorm_src 0
		.amdhsa_exception_fp_ieee_div_zero 0
		.amdhsa_exception_fp_ieee_overflow 0
		.amdhsa_exception_fp_ieee_underflow 0
		.amdhsa_exception_fp_ieee_inexact 0
		.amdhsa_exception_int_div_zero 0
	.end_amdhsa_kernel
	.section	.text._ZN9rocsparseL16valset_2d_kernelILj256ElDF16_EEvT0_S1_lT1_PS2_16rocsparse_order_,"axG",@progbits,_ZN9rocsparseL16valset_2d_kernelILj256ElDF16_EEvT0_S1_lT1_PS2_16rocsparse_order_,comdat
.Lfunc_end42:
	.size	_ZN9rocsparseL16valset_2d_kernelILj256ElDF16_EEvT0_S1_lT1_PS2_16rocsparse_order_, .Lfunc_end42-_ZN9rocsparseL16valset_2d_kernelILj256ElDF16_EEvT0_S1_lT1_PS2_16rocsparse_order_
                                        ; -- End function
	.set _ZN9rocsparseL16valset_2d_kernelILj256ElDF16_EEvT0_S1_lT1_PS2_16rocsparse_order_.num_vgpr, 12
	.set _ZN9rocsparseL16valset_2d_kernelILj256ElDF16_EEvT0_S1_lT1_PS2_16rocsparse_order_.num_agpr, 0
	.set _ZN9rocsparseL16valset_2d_kernelILj256ElDF16_EEvT0_S1_lT1_PS2_16rocsparse_order_.numbered_sgpr, 21
	.set _ZN9rocsparseL16valset_2d_kernelILj256ElDF16_EEvT0_S1_lT1_PS2_16rocsparse_order_.num_named_barrier, 0
	.set _ZN9rocsparseL16valset_2d_kernelILj256ElDF16_EEvT0_S1_lT1_PS2_16rocsparse_order_.private_seg_size, 0
	.set _ZN9rocsparseL16valset_2d_kernelILj256ElDF16_EEvT0_S1_lT1_PS2_16rocsparse_order_.uses_vcc, 1
	.set _ZN9rocsparseL16valset_2d_kernelILj256ElDF16_EEvT0_S1_lT1_PS2_16rocsparse_order_.uses_flat_scratch, 0
	.set _ZN9rocsparseL16valset_2d_kernelILj256ElDF16_EEvT0_S1_lT1_PS2_16rocsparse_order_.has_dyn_sized_stack, 0
	.set _ZN9rocsparseL16valset_2d_kernelILj256ElDF16_EEvT0_S1_lT1_PS2_16rocsparse_order_.has_recursion, 0
	.set _ZN9rocsparseL16valset_2d_kernelILj256ElDF16_EEvT0_S1_lT1_PS2_16rocsparse_order_.has_indirect_call, 0
	.section	.AMDGPU.csdata,"",@progbits
; Kernel info:
; codeLenInByte = 964
; TotalNumSgprs: 27
; NumVgprs: 12
; NumAgprs: 0
; TotalNumVgprs: 12
; ScratchSize: 0
; MemoryBound: 0
; FloatMode: 240
; IeeeMode: 1
; LDSByteSize: 0 bytes/workgroup (compile time only)
; SGPRBlocks: 3
; VGPRBlocks: 1
; NumSGPRsForWavesPerEU: 27
; NumVGPRsForWavesPerEU: 12
; AccumOffset: 12
; Occupancy: 8
; WaveLimiterHint : 0
; COMPUTE_PGM_RSRC2:SCRATCH_EN: 0
; COMPUTE_PGM_RSRC2:USER_SGPR: 2
; COMPUTE_PGM_RSRC2:TRAP_HANDLER: 0
; COMPUTE_PGM_RSRC2:TGID_X_EN: 1
; COMPUTE_PGM_RSRC2:TGID_Y_EN: 0
; COMPUTE_PGM_RSRC2:TGID_Z_EN: 0
; COMPUTE_PGM_RSRC2:TIDIG_COMP_CNT: 0
; COMPUTE_PGM_RSRC3_GFX90A:ACCUM_OFFSET: 2
; COMPUTE_PGM_RSRC3_GFX90A:TG_SPLIT: 0
	.section	.text._ZN9rocsparseL16valset_2d_kernelILj256El18rocsparse_bfloat16EEvT0_S2_lT1_PS3_16rocsparse_order_,"axG",@progbits,_ZN9rocsparseL16valset_2d_kernelILj256El18rocsparse_bfloat16EEvT0_S2_lT1_PS3_16rocsparse_order_,comdat
	.globl	_ZN9rocsparseL16valset_2d_kernelILj256El18rocsparse_bfloat16EEvT0_S2_lT1_PS3_16rocsparse_order_ ; -- Begin function _ZN9rocsparseL16valset_2d_kernelILj256El18rocsparse_bfloat16EEvT0_S2_lT1_PS3_16rocsparse_order_
	.p2align	8
	.type	_ZN9rocsparseL16valset_2d_kernelILj256El18rocsparse_bfloat16EEvT0_S2_lT1_PS3_16rocsparse_order_,@function
_ZN9rocsparseL16valset_2d_kernelILj256El18rocsparse_bfloat16EEvT0_S2_lT1_PS3_16rocsparse_order_: ; @_ZN9rocsparseL16valset_2d_kernelILj256El18rocsparse_bfloat16EEvT0_S2_lT1_PS3_16rocsparse_order_
; %bb.0:
	s_load_dwordx4 s[4:7], s[0:1], 0x0
	v_lshl_or_b32 v0, s2, 8, v0
	v_mov_b32_e32 v1, 0
	s_waitcnt lgkmcnt(0)
	s_mul_i32 s2, s6, s5
	s_mul_hi_u32 s3, s6, s4
	s_add_i32 s2, s3, s2
	s_mul_i32 s3, s7, s4
	s_add_i32 s3, s2, s3
	s_mul_i32 s2, s6, s4
	v_cmp_gt_i64_e32 vcc, s[2:3], v[0:1]
	s_and_saveexec_b64 s[2:3], vcc
	s_cbranch_execz .LBB43_5
; %bb.1:
	s_load_dword s2, s[0:1], 0x28
	s_load_dwordx2 s[8:9], s[0:1], 0x10
	s_waitcnt lgkmcnt(0)
	s_cmp_eq_u32 s2, 1
	s_cselect_b32 s5, s5, s7
	s_cselect_b32 s14, s4, s6
	s_mov_b32 s4, 0
	s_cmp_lg_u64 s[4:5], 0
	s_cbranch_scc0 .LBB43_6
; %bb.2:
	s_ashr_i32 s6, s5, 31
	s_add_u32 s2, s14, s6
	s_mov_b32 s7, s6
	s_addc_u32 s3, s5, s6
	s_xor_b64 s[12:13], s[2:3], s[6:7]
	v_cvt_f32_u32_e32 v2, s12
	v_cvt_f32_u32_e32 v3, s13
	s_sub_u32 s4, 0, s12
	s_subb_u32 s7, 0, s13
	v_lshl_add_u64 v[4:5], v[0:1], 0, 0
	v_fmamk_f32 v2, v3, 0x4f800000, v2
	v_rcp_f32_e32 v2, v2
	s_nop 0
	v_mul_f32_e32 v2, 0x5f7ffffc, v2
	v_mul_f32_e32 v3, 0x2f800000, v2
	v_trunc_f32_e32 v3, v3
	v_fmamk_f32 v2, v3, 0xcf800000, v2
	v_cvt_u32_f32_e32 v3, v3
	v_cvt_u32_f32_e32 v2, v2
	v_readfirstlane_b32 s15, v3
	v_readfirstlane_b32 s2, v2
	s_mul_i32 s3, s4, s15
	s_mul_hi_u32 s17, s4, s2
	s_mul_i32 s16, s7, s2
	s_add_i32 s3, s17, s3
	s_add_i32 s3, s3, s16
	s_mul_i32 s18, s4, s2
	s_mul_i32 s17, s2, s3
	s_mul_hi_u32 s19, s2, s18
	s_mul_hi_u32 s16, s2, s3
	s_add_u32 s17, s19, s17
	s_addc_u32 s16, 0, s16
	s_mul_hi_u32 s20, s15, s18
	s_mul_i32 s18, s15, s18
	s_add_u32 s17, s17, s18
	s_mul_hi_u32 s19, s15, s3
	s_addc_u32 s16, s16, s20
	s_addc_u32 s17, s19, 0
	s_mul_i32 s3, s15, s3
	s_add_u32 s3, s16, s3
	s_addc_u32 s16, 0, s17
	s_add_u32 s17, s2, s3
	s_cselect_b64 s[2:3], -1, 0
	s_cmp_lg_u64 s[2:3], 0
	s_addc_u32 s15, s15, s16
	s_mul_i32 s2, s4, s15
	s_mul_hi_u32 s3, s4, s17
	s_add_i32 s2, s3, s2
	s_mul_i32 s7, s7, s17
	s_add_i32 s2, s2, s7
	s_mul_i32 s4, s4, s17
	s_mul_hi_u32 s7, s15, s4
	s_mul_i32 s16, s15, s4
	s_mul_i32 s19, s17, s2
	s_mul_hi_u32 s4, s17, s4
	s_mul_hi_u32 s18, s17, s2
	s_add_u32 s4, s4, s19
	s_addc_u32 s18, 0, s18
	s_add_u32 s4, s4, s16
	s_mul_hi_u32 s3, s15, s2
	s_addc_u32 s4, s18, s7
	s_addc_u32 s3, s3, 0
	s_mul_i32 s2, s15, s2
	s_add_u32 s2, s4, s2
	s_addc_u32 s4, 0, s3
	s_add_u32 s7, s17, s2
	s_cselect_b64 s[2:3], -1, 0
	s_cmp_lg_u64 s[2:3], 0
	s_addc_u32 s4, s15, s4
	v_mov_b32_e32 v3, 0
	v_mad_u64_u32 v[6:7], s[2:3], v4, s4, 0
	v_mul_hi_u32 v2, v4, s7
	v_lshl_add_u64 v[6:7], v[2:3], 0, v[6:7]
	v_mad_u64_u32 v[10:11], s[2:3], v5, s7, 0
	v_add_co_u32_e32 v1, vcc, v6, v10
	v_mad_u64_u32 v[8:9], s[2:3], v5, s4, 0
	s_nop 0
	v_addc_co_u32_e32 v2, vcc, v7, v11, vcc
	s_nop 1
	v_addc_co_u32_e32 v9, vcc, 0, v9, vcc
	v_lshl_add_u64 v[2:3], v[2:3], 0, v[8:9]
	v_mul_lo_u32 v1, s13, v2
	v_mul_lo_u32 v8, s12, v3
	v_mad_u64_u32 v[6:7], s[2:3], s12, v2, 0
	v_add3_u32 v1, v7, v8, v1
	v_sub_u32_e32 v7, v5, v1
	v_mov_b32_e32 v8, s13
	v_sub_co_u32_e32 v4, vcc, v4, v6
	s_nop 1
	v_subb_co_u32_e64 v6, s[2:3], v7, v8, vcc
	v_subrev_co_u32_e64 v7, s[2:3], s12, v4
	v_subb_co_u32_e32 v1, vcc, v5, v1, vcc
	s_nop 0
	v_subbrev_co_u32_e64 v6, s[2:3], 0, v6, s[2:3]
	v_cmp_le_u32_e64 s[2:3], s13, v6
	v_cmp_le_u32_e32 vcc, s13, v1
	s_nop 0
	v_cndmask_b32_e64 v8, 0, -1, s[2:3]
	v_cmp_le_u32_e64 s[2:3], s12, v7
	v_cndmask_b32_e64 v5, 0, -1, vcc
	v_cmp_le_u32_e32 vcc, s12, v4
	v_cndmask_b32_e64 v7, 0, -1, s[2:3]
	v_cmp_eq_u32_e64 s[2:3], s13, v6
	v_cndmask_b32_e64 v4, 0, -1, vcc
	v_cmp_eq_u32_e32 vcc, s13, v1
	v_cndmask_b32_e64 v10, v8, v7, s[2:3]
	v_lshl_add_u64 v[6:7], v[2:3], 0, 2
	v_lshl_add_u64 v[8:9], v[2:3], 0, 1
	v_cmp_ne_u32_e64 s[2:3], 0, v10
	v_cndmask_b32_e32 v1, v5, v4, vcc
	v_cmp_ne_u32_e32 vcc, 0, v1
	v_cndmask_b32_e64 v7, v9, v7, s[2:3]
	s_nop 0
	v_cndmask_b32_e32 v1, v3, v7, vcc
	v_cndmask_b32_e64 v3, v8, v6, s[2:3]
	v_cndmask_b32_e32 v2, v2, v3, vcc
	v_xor_b32_e32 v2, s6, v2
	v_xor_b32_e32 v1, s6, v1
	v_mov_b32_e32 v3, s6
	v_subrev_co_u32_e32 v2, vcc, s6, v2
	s_nop 1
	v_subb_co_u32_e32 v3, vcc, v1, v3, vcc
	s_cbranch_execnz .LBB43_4
.LBB43_3:
	v_cvt_f32_u32_e32 v1, s14
	s_sub_i32 s2, 0, s14
	v_rcp_iflag_f32_e32 v1, v1
	s_nop 0
	v_mul_f32_e32 v1, 0x4f7ffffe, v1
	v_cvt_u32_f32_e32 v1, v1
	v_mul_lo_u32 v2, s2, v1
	v_mul_hi_u32 v2, v1, v2
	v_add_u32_e32 v1, v1, v2
	v_mul_hi_u32 v1, v0, v1
	v_mul_lo_u32 v2, v1, s14
	v_sub_u32_e32 v2, v0, v2
	v_add_u32_e32 v3, 1, v1
	v_subrev_u32_e32 v4, s14, v2
	v_cmp_le_u32_e32 vcc, s14, v2
	s_nop 1
	v_cndmask_b32_e32 v2, v2, v4, vcc
	v_cndmask_b32_e32 v1, v1, v3, vcc
	v_add_u32_e32 v3, 1, v1
	v_cmp_le_u32_e32 vcc, s14, v2
	s_nop 1
	v_cndmask_b32_e32 v2, v1, v3, vcc
	v_mov_b32_e32 v3, 0
.LBB43_4:
	s_load_dword s4, s[0:1], 0x18
	s_load_dwordx2 s[2:3], s[0:1], 0x20
	v_mul_lo_u32 v1, v3, s14
	v_mul_lo_u32 v6, v2, s5
	v_mad_u64_u32 v[4:5], s[0:1], v2, s14, 0
	v_add3_u32 v1, v5, v6, v1
	v_sub_co_u32_e32 v0, vcc, v0, v4
	v_mul_lo_u32 v4, v3, s8
	s_nop 0
	v_subb_co_u32_e32 v1, vcc, 0, v1, vcc
	v_mul_lo_u32 v5, v2, s9
	v_mad_u64_u32 v[2:3], s[0:1], v2, s8, 0
	v_add3_u32 v3, v3, v5, v4
	s_waitcnt lgkmcnt(0)
	v_lshl_add_u64 v[0:1], v[0:1], 1, s[2:3]
	v_lshl_add_u64 v[0:1], v[2:3], 1, v[0:1]
	v_mov_b32_e32 v2, s4
	global_store_short v[0:1], v2, off
.LBB43_5:
	s_endpgm
.LBB43_6:
                                        ; implicit-def: $vgpr2_vgpr3
	s_branch .LBB43_3
	.section	.rodata,"a",@progbits
	.p2align	6, 0x0
	.amdhsa_kernel _ZN9rocsparseL16valset_2d_kernelILj256El18rocsparse_bfloat16EEvT0_S2_lT1_PS3_16rocsparse_order_
		.amdhsa_group_segment_fixed_size 0
		.amdhsa_private_segment_fixed_size 0
		.amdhsa_kernarg_size 44
		.amdhsa_user_sgpr_count 2
		.amdhsa_user_sgpr_dispatch_ptr 0
		.amdhsa_user_sgpr_queue_ptr 0
		.amdhsa_user_sgpr_kernarg_segment_ptr 1
		.amdhsa_user_sgpr_dispatch_id 0
		.amdhsa_user_sgpr_kernarg_preload_length 0
		.amdhsa_user_sgpr_kernarg_preload_offset 0
		.amdhsa_user_sgpr_private_segment_size 0
		.amdhsa_uses_dynamic_stack 0
		.amdhsa_enable_private_segment 0
		.amdhsa_system_sgpr_workgroup_id_x 1
		.amdhsa_system_sgpr_workgroup_id_y 0
		.amdhsa_system_sgpr_workgroup_id_z 0
		.amdhsa_system_sgpr_workgroup_info 0
		.amdhsa_system_vgpr_workitem_id 0
		.amdhsa_next_free_vgpr 12
		.amdhsa_next_free_sgpr 21
		.amdhsa_accum_offset 12
		.amdhsa_reserve_vcc 1
		.amdhsa_float_round_mode_32 0
		.amdhsa_float_round_mode_16_64 0
		.amdhsa_float_denorm_mode_32 3
		.amdhsa_float_denorm_mode_16_64 3
		.amdhsa_dx10_clamp 1
		.amdhsa_ieee_mode 1
		.amdhsa_fp16_overflow 0
		.amdhsa_tg_split 0
		.amdhsa_exception_fp_ieee_invalid_op 0
		.amdhsa_exception_fp_denorm_src 0
		.amdhsa_exception_fp_ieee_div_zero 0
		.amdhsa_exception_fp_ieee_overflow 0
		.amdhsa_exception_fp_ieee_underflow 0
		.amdhsa_exception_fp_ieee_inexact 0
		.amdhsa_exception_int_div_zero 0
	.end_amdhsa_kernel
	.section	.text._ZN9rocsparseL16valset_2d_kernelILj256El18rocsparse_bfloat16EEvT0_S2_lT1_PS3_16rocsparse_order_,"axG",@progbits,_ZN9rocsparseL16valset_2d_kernelILj256El18rocsparse_bfloat16EEvT0_S2_lT1_PS3_16rocsparse_order_,comdat
.Lfunc_end43:
	.size	_ZN9rocsparseL16valset_2d_kernelILj256El18rocsparse_bfloat16EEvT0_S2_lT1_PS3_16rocsparse_order_, .Lfunc_end43-_ZN9rocsparseL16valset_2d_kernelILj256El18rocsparse_bfloat16EEvT0_S2_lT1_PS3_16rocsparse_order_
                                        ; -- End function
	.set _ZN9rocsparseL16valset_2d_kernelILj256El18rocsparse_bfloat16EEvT0_S2_lT1_PS3_16rocsparse_order_.num_vgpr, 12
	.set _ZN9rocsparseL16valset_2d_kernelILj256El18rocsparse_bfloat16EEvT0_S2_lT1_PS3_16rocsparse_order_.num_agpr, 0
	.set _ZN9rocsparseL16valset_2d_kernelILj256El18rocsparse_bfloat16EEvT0_S2_lT1_PS3_16rocsparse_order_.numbered_sgpr, 21
	.set _ZN9rocsparseL16valset_2d_kernelILj256El18rocsparse_bfloat16EEvT0_S2_lT1_PS3_16rocsparse_order_.num_named_barrier, 0
	.set _ZN9rocsparseL16valset_2d_kernelILj256El18rocsparse_bfloat16EEvT0_S2_lT1_PS3_16rocsparse_order_.private_seg_size, 0
	.set _ZN9rocsparseL16valset_2d_kernelILj256El18rocsparse_bfloat16EEvT0_S2_lT1_PS3_16rocsparse_order_.uses_vcc, 1
	.set _ZN9rocsparseL16valset_2d_kernelILj256El18rocsparse_bfloat16EEvT0_S2_lT1_PS3_16rocsparse_order_.uses_flat_scratch, 0
	.set _ZN9rocsparseL16valset_2d_kernelILj256El18rocsparse_bfloat16EEvT0_S2_lT1_PS3_16rocsparse_order_.has_dyn_sized_stack, 0
	.set _ZN9rocsparseL16valset_2d_kernelILj256El18rocsparse_bfloat16EEvT0_S2_lT1_PS3_16rocsparse_order_.has_recursion, 0
	.set _ZN9rocsparseL16valset_2d_kernelILj256El18rocsparse_bfloat16EEvT0_S2_lT1_PS3_16rocsparse_order_.has_indirect_call, 0
	.section	.AMDGPU.csdata,"",@progbits
; Kernel info:
; codeLenInByte = 964
; TotalNumSgprs: 27
; NumVgprs: 12
; NumAgprs: 0
; TotalNumVgprs: 12
; ScratchSize: 0
; MemoryBound: 0
; FloatMode: 240
; IeeeMode: 1
; LDSByteSize: 0 bytes/workgroup (compile time only)
; SGPRBlocks: 3
; VGPRBlocks: 1
; NumSGPRsForWavesPerEU: 27
; NumVGPRsForWavesPerEU: 12
; AccumOffset: 12
; Occupancy: 8
; WaveLimiterHint : 0
; COMPUTE_PGM_RSRC2:SCRATCH_EN: 0
; COMPUTE_PGM_RSRC2:USER_SGPR: 2
; COMPUTE_PGM_RSRC2:TRAP_HANDLER: 0
; COMPUTE_PGM_RSRC2:TGID_X_EN: 1
; COMPUTE_PGM_RSRC2:TGID_Y_EN: 0
; COMPUTE_PGM_RSRC2:TGID_Z_EN: 0
; COMPUTE_PGM_RSRC2:TIDIG_COMP_CNT: 0
; COMPUTE_PGM_RSRC3_GFX90A:ACCUM_OFFSET: 2
; COMPUTE_PGM_RSRC3_GFX90A:TG_SPLIT: 0
	.section	.text._ZN9rocsparseL16valset_2d_kernelILj256ElfEEvT0_S1_lT1_PS2_16rocsparse_order_,"axG",@progbits,_ZN9rocsparseL16valset_2d_kernelILj256ElfEEvT0_S1_lT1_PS2_16rocsparse_order_,comdat
	.globl	_ZN9rocsparseL16valset_2d_kernelILj256ElfEEvT0_S1_lT1_PS2_16rocsparse_order_ ; -- Begin function _ZN9rocsparseL16valset_2d_kernelILj256ElfEEvT0_S1_lT1_PS2_16rocsparse_order_
	.p2align	8
	.type	_ZN9rocsparseL16valset_2d_kernelILj256ElfEEvT0_S1_lT1_PS2_16rocsparse_order_,@function
_ZN9rocsparseL16valset_2d_kernelILj256ElfEEvT0_S1_lT1_PS2_16rocsparse_order_: ; @_ZN9rocsparseL16valset_2d_kernelILj256ElfEEvT0_S1_lT1_PS2_16rocsparse_order_
; %bb.0:
	s_load_dwordx4 s[4:7], s[0:1], 0x0
	v_lshl_or_b32 v0, s2, 8, v0
	v_mov_b32_e32 v1, 0
	s_waitcnt lgkmcnt(0)
	s_mul_i32 s2, s6, s5
	s_mul_hi_u32 s3, s6, s4
	s_add_i32 s2, s3, s2
	s_mul_i32 s3, s7, s4
	s_add_i32 s3, s2, s3
	s_mul_i32 s2, s6, s4
	v_cmp_gt_i64_e32 vcc, s[2:3], v[0:1]
	s_and_saveexec_b64 s[2:3], vcc
	s_cbranch_execz .LBB44_5
; %bb.1:
	s_load_dword s2, s[0:1], 0x28
	s_load_dwordx2 s[8:9], s[0:1], 0x10
	s_waitcnt lgkmcnt(0)
	s_cmp_eq_u32 s2, 1
	s_cselect_b32 s5, s5, s7
	s_cselect_b32 s14, s4, s6
	s_mov_b32 s4, 0
	s_cmp_lg_u64 s[4:5], 0
	s_cbranch_scc0 .LBB44_6
; %bb.2:
	s_ashr_i32 s6, s5, 31
	s_add_u32 s2, s14, s6
	s_mov_b32 s7, s6
	s_addc_u32 s3, s5, s6
	s_xor_b64 s[12:13], s[2:3], s[6:7]
	v_cvt_f32_u32_e32 v2, s12
	v_cvt_f32_u32_e32 v3, s13
	s_sub_u32 s4, 0, s12
	s_subb_u32 s7, 0, s13
	v_lshl_add_u64 v[4:5], v[0:1], 0, 0
	v_fmamk_f32 v2, v3, 0x4f800000, v2
	v_rcp_f32_e32 v2, v2
	s_nop 0
	v_mul_f32_e32 v2, 0x5f7ffffc, v2
	v_mul_f32_e32 v3, 0x2f800000, v2
	v_trunc_f32_e32 v3, v3
	v_fmamk_f32 v2, v3, 0xcf800000, v2
	v_cvt_u32_f32_e32 v3, v3
	v_cvt_u32_f32_e32 v2, v2
	v_readfirstlane_b32 s15, v3
	v_readfirstlane_b32 s2, v2
	s_mul_i32 s3, s4, s15
	s_mul_hi_u32 s17, s4, s2
	s_mul_i32 s16, s7, s2
	s_add_i32 s3, s17, s3
	s_add_i32 s3, s3, s16
	s_mul_i32 s18, s4, s2
	s_mul_i32 s17, s2, s3
	s_mul_hi_u32 s19, s2, s18
	s_mul_hi_u32 s16, s2, s3
	s_add_u32 s17, s19, s17
	s_addc_u32 s16, 0, s16
	s_mul_hi_u32 s20, s15, s18
	s_mul_i32 s18, s15, s18
	s_add_u32 s17, s17, s18
	s_mul_hi_u32 s19, s15, s3
	s_addc_u32 s16, s16, s20
	s_addc_u32 s17, s19, 0
	s_mul_i32 s3, s15, s3
	s_add_u32 s3, s16, s3
	s_addc_u32 s16, 0, s17
	s_add_u32 s17, s2, s3
	s_cselect_b64 s[2:3], -1, 0
	s_cmp_lg_u64 s[2:3], 0
	s_addc_u32 s15, s15, s16
	s_mul_i32 s2, s4, s15
	s_mul_hi_u32 s3, s4, s17
	s_add_i32 s2, s3, s2
	s_mul_i32 s7, s7, s17
	s_add_i32 s2, s2, s7
	s_mul_i32 s4, s4, s17
	s_mul_hi_u32 s7, s15, s4
	s_mul_i32 s16, s15, s4
	s_mul_i32 s19, s17, s2
	s_mul_hi_u32 s4, s17, s4
	s_mul_hi_u32 s18, s17, s2
	s_add_u32 s4, s4, s19
	s_addc_u32 s18, 0, s18
	s_add_u32 s4, s4, s16
	s_mul_hi_u32 s3, s15, s2
	s_addc_u32 s4, s18, s7
	s_addc_u32 s3, s3, 0
	s_mul_i32 s2, s15, s2
	s_add_u32 s2, s4, s2
	s_addc_u32 s4, 0, s3
	s_add_u32 s7, s17, s2
	s_cselect_b64 s[2:3], -1, 0
	s_cmp_lg_u64 s[2:3], 0
	s_addc_u32 s4, s15, s4
	v_mov_b32_e32 v3, 0
	v_mad_u64_u32 v[6:7], s[2:3], v4, s4, 0
	v_mul_hi_u32 v2, v4, s7
	v_lshl_add_u64 v[6:7], v[2:3], 0, v[6:7]
	v_mad_u64_u32 v[10:11], s[2:3], v5, s7, 0
	v_add_co_u32_e32 v1, vcc, v6, v10
	v_mad_u64_u32 v[8:9], s[2:3], v5, s4, 0
	s_nop 0
	v_addc_co_u32_e32 v2, vcc, v7, v11, vcc
	s_nop 1
	v_addc_co_u32_e32 v9, vcc, 0, v9, vcc
	v_lshl_add_u64 v[2:3], v[2:3], 0, v[8:9]
	v_mul_lo_u32 v1, s13, v2
	v_mul_lo_u32 v8, s12, v3
	v_mad_u64_u32 v[6:7], s[2:3], s12, v2, 0
	v_add3_u32 v1, v7, v8, v1
	v_sub_u32_e32 v7, v5, v1
	v_mov_b32_e32 v8, s13
	v_sub_co_u32_e32 v4, vcc, v4, v6
	s_nop 1
	v_subb_co_u32_e64 v6, s[2:3], v7, v8, vcc
	v_subrev_co_u32_e64 v7, s[2:3], s12, v4
	v_subb_co_u32_e32 v1, vcc, v5, v1, vcc
	s_nop 0
	v_subbrev_co_u32_e64 v6, s[2:3], 0, v6, s[2:3]
	v_cmp_le_u32_e64 s[2:3], s13, v6
	v_cmp_le_u32_e32 vcc, s13, v1
	s_nop 0
	v_cndmask_b32_e64 v8, 0, -1, s[2:3]
	v_cmp_le_u32_e64 s[2:3], s12, v7
	v_cndmask_b32_e64 v5, 0, -1, vcc
	v_cmp_le_u32_e32 vcc, s12, v4
	v_cndmask_b32_e64 v7, 0, -1, s[2:3]
	v_cmp_eq_u32_e64 s[2:3], s13, v6
	v_cndmask_b32_e64 v4, 0, -1, vcc
	v_cmp_eq_u32_e32 vcc, s13, v1
	v_cndmask_b32_e64 v10, v8, v7, s[2:3]
	v_lshl_add_u64 v[6:7], v[2:3], 0, 2
	v_lshl_add_u64 v[8:9], v[2:3], 0, 1
	v_cmp_ne_u32_e64 s[2:3], 0, v10
	v_cndmask_b32_e32 v1, v5, v4, vcc
	v_cmp_ne_u32_e32 vcc, 0, v1
	v_cndmask_b32_e64 v7, v9, v7, s[2:3]
	s_nop 0
	v_cndmask_b32_e32 v1, v3, v7, vcc
	v_cndmask_b32_e64 v3, v8, v6, s[2:3]
	v_cndmask_b32_e32 v2, v2, v3, vcc
	v_xor_b32_e32 v2, s6, v2
	v_xor_b32_e32 v1, s6, v1
	v_mov_b32_e32 v3, s6
	v_subrev_co_u32_e32 v2, vcc, s6, v2
	s_nop 1
	v_subb_co_u32_e32 v3, vcc, v1, v3, vcc
	s_cbranch_execnz .LBB44_4
.LBB44_3:
	v_cvt_f32_u32_e32 v1, s14
	s_sub_i32 s2, 0, s14
	v_rcp_iflag_f32_e32 v1, v1
	s_nop 0
	v_mul_f32_e32 v1, 0x4f7ffffe, v1
	v_cvt_u32_f32_e32 v1, v1
	v_mul_lo_u32 v2, s2, v1
	v_mul_hi_u32 v2, v1, v2
	v_add_u32_e32 v1, v1, v2
	v_mul_hi_u32 v1, v0, v1
	v_mul_lo_u32 v2, v1, s14
	v_sub_u32_e32 v2, v0, v2
	v_add_u32_e32 v3, 1, v1
	v_subrev_u32_e32 v4, s14, v2
	v_cmp_le_u32_e32 vcc, s14, v2
	s_nop 1
	v_cndmask_b32_e32 v2, v2, v4, vcc
	v_cndmask_b32_e32 v1, v1, v3, vcc
	v_add_u32_e32 v3, 1, v1
	v_cmp_le_u32_e32 vcc, s14, v2
	s_nop 1
	v_cndmask_b32_e32 v2, v1, v3, vcc
	v_mov_b32_e32 v3, 0
.LBB44_4:
	s_load_dword s4, s[0:1], 0x18
	s_load_dwordx2 s[2:3], s[0:1], 0x20
	v_mul_lo_u32 v1, v3, s14
	v_mul_lo_u32 v6, v2, s5
	v_mad_u64_u32 v[4:5], s[0:1], v2, s14, 0
	v_add3_u32 v1, v5, v6, v1
	v_sub_co_u32_e32 v0, vcc, v0, v4
	v_mul_lo_u32 v4, v3, s8
	s_nop 0
	v_subb_co_u32_e32 v1, vcc, 0, v1, vcc
	v_mul_lo_u32 v5, v2, s9
	v_mad_u64_u32 v[2:3], s[0:1], v2, s8, 0
	v_add3_u32 v3, v3, v5, v4
	s_waitcnt lgkmcnt(0)
	v_lshl_add_u64 v[0:1], v[0:1], 2, s[2:3]
	v_lshl_add_u64 v[0:1], v[2:3], 2, v[0:1]
	v_mov_b32_e32 v2, s4
	global_store_dword v[0:1], v2, off
.LBB44_5:
	s_endpgm
.LBB44_6:
                                        ; implicit-def: $vgpr2_vgpr3
	s_branch .LBB44_3
	.section	.rodata,"a",@progbits
	.p2align	6, 0x0
	.amdhsa_kernel _ZN9rocsparseL16valset_2d_kernelILj256ElfEEvT0_S1_lT1_PS2_16rocsparse_order_
		.amdhsa_group_segment_fixed_size 0
		.amdhsa_private_segment_fixed_size 0
		.amdhsa_kernarg_size 44
		.amdhsa_user_sgpr_count 2
		.amdhsa_user_sgpr_dispatch_ptr 0
		.amdhsa_user_sgpr_queue_ptr 0
		.amdhsa_user_sgpr_kernarg_segment_ptr 1
		.amdhsa_user_sgpr_dispatch_id 0
		.amdhsa_user_sgpr_kernarg_preload_length 0
		.amdhsa_user_sgpr_kernarg_preload_offset 0
		.amdhsa_user_sgpr_private_segment_size 0
		.amdhsa_uses_dynamic_stack 0
		.amdhsa_enable_private_segment 0
		.amdhsa_system_sgpr_workgroup_id_x 1
		.amdhsa_system_sgpr_workgroup_id_y 0
		.amdhsa_system_sgpr_workgroup_id_z 0
		.amdhsa_system_sgpr_workgroup_info 0
		.amdhsa_system_vgpr_workitem_id 0
		.amdhsa_next_free_vgpr 12
		.amdhsa_next_free_sgpr 21
		.amdhsa_accum_offset 12
		.amdhsa_reserve_vcc 1
		.amdhsa_float_round_mode_32 0
		.amdhsa_float_round_mode_16_64 0
		.amdhsa_float_denorm_mode_32 3
		.amdhsa_float_denorm_mode_16_64 3
		.amdhsa_dx10_clamp 1
		.amdhsa_ieee_mode 1
		.amdhsa_fp16_overflow 0
		.amdhsa_tg_split 0
		.amdhsa_exception_fp_ieee_invalid_op 0
		.amdhsa_exception_fp_denorm_src 0
		.amdhsa_exception_fp_ieee_div_zero 0
		.amdhsa_exception_fp_ieee_overflow 0
		.amdhsa_exception_fp_ieee_underflow 0
		.amdhsa_exception_fp_ieee_inexact 0
		.amdhsa_exception_int_div_zero 0
	.end_amdhsa_kernel
	.section	.text._ZN9rocsparseL16valset_2d_kernelILj256ElfEEvT0_S1_lT1_PS2_16rocsparse_order_,"axG",@progbits,_ZN9rocsparseL16valset_2d_kernelILj256ElfEEvT0_S1_lT1_PS2_16rocsparse_order_,comdat
.Lfunc_end44:
	.size	_ZN9rocsparseL16valset_2d_kernelILj256ElfEEvT0_S1_lT1_PS2_16rocsparse_order_, .Lfunc_end44-_ZN9rocsparseL16valset_2d_kernelILj256ElfEEvT0_S1_lT1_PS2_16rocsparse_order_
                                        ; -- End function
	.set _ZN9rocsparseL16valset_2d_kernelILj256ElfEEvT0_S1_lT1_PS2_16rocsparse_order_.num_vgpr, 12
	.set _ZN9rocsparseL16valset_2d_kernelILj256ElfEEvT0_S1_lT1_PS2_16rocsparse_order_.num_agpr, 0
	.set _ZN9rocsparseL16valset_2d_kernelILj256ElfEEvT0_S1_lT1_PS2_16rocsparse_order_.numbered_sgpr, 21
	.set _ZN9rocsparseL16valset_2d_kernelILj256ElfEEvT0_S1_lT1_PS2_16rocsparse_order_.num_named_barrier, 0
	.set _ZN9rocsparseL16valset_2d_kernelILj256ElfEEvT0_S1_lT1_PS2_16rocsparse_order_.private_seg_size, 0
	.set _ZN9rocsparseL16valset_2d_kernelILj256ElfEEvT0_S1_lT1_PS2_16rocsparse_order_.uses_vcc, 1
	.set _ZN9rocsparseL16valset_2d_kernelILj256ElfEEvT0_S1_lT1_PS2_16rocsparse_order_.uses_flat_scratch, 0
	.set _ZN9rocsparseL16valset_2d_kernelILj256ElfEEvT0_S1_lT1_PS2_16rocsparse_order_.has_dyn_sized_stack, 0
	.set _ZN9rocsparseL16valset_2d_kernelILj256ElfEEvT0_S1_lT1_PS2_16rocsparse_order_.has_recursion, 0
	.set _ZN9rocsparseL16valset_2d_kernelILj256ElfEEvT0_S1_lT1_PS2_16rocsparse_order_.has_indirect_call, 0
	.section	.AMDGPU.csdata,"",@progbits
; Kernel info:
; codeLenInByte = 964
; TotalNumSgprs: 27
; NumVgprs: 12
; NumAgprs: 0
; TotalNumVgprs: 12
; ScratchSize: 0
; MemoryBound: 0
; FloatMode: 240
; IeeeMode: 1
; LDSByteSize: 0 bytes/workgroup (compile time only)
; SGPRBlocks: 3
; VGPRBlocks: 1
; NumSGPRsForWavesPerEU: 27
; NumVGPRsForWavesPerEU: 12
; AccumOffset: 12
; Occupancy: 8
; WaveLimiterHint : 0
; COMPUTE_PGM_RSRC2:SCRATCH_EN: 0
; COMPUTE_PGM_RSRC2:USER_SGPR: 2
; COMPUTE_PGM_RSRC2:TRAP_HANDLER: 0
; COMPUTE_PGM_RSRC2:TGID_X_EN: 1
; COMPUTE_PGM_RSRC2:TGID_Y_EN: 0
; COMPUTE_PGM_RSRC2:TGID_Z_EN: 0
; COMPUTE_PGM_RSRC2:TIDIG_COMP_CNT: 0
; COMPUTE_PGM_RSRC3_GFX90A:ACCUM_OFFSET: 2
; COMPUTE_PGM_RSRC3_GFX90A:TG_SPLIT: 0
	.section	.text._ZN9rocsparseL16valset_2d_kernelILj256EldEEvT0_S1_lT1_PS2_16rocsparse_order_,"axG",@progbits,_ZN9rocsparseL16valset_2d_kernelILj256EldEEvT0_S1_lT1_PS2_16rocsparse_order_,comdat
	.globl	_ZN9rocsparseL16valset_2d_kernelILj256EldEEvT0_S1_lT1_PS2_16rocsparse_order_ ; -- Begin function _ZN9rocsparseL16valset_2d_kernelILj256EldEEvT0_S1_lT1_PS2_16rocsparse_order_
	.p2align	8
	.type	_ZN9rocsparseL16valset_2d_kernelILj256EldEEvT0_S1_lT1_PS2_16rocsparse_order_,@function
_ZN9rocsparseL16valset_2d_kernelILj256EldEEvT0_S1_lT1_PS2_16rocsparse_order_: ; @_ZN9rocsparseL16valset_2d_kernelILj256EldEEvT0_S1_lT1_PS2_16rocsparse_order_
; %bb.0:
	s_load_dwordx8 s[4:11], s[0:1], 0x0
	v_lshl_or_b32 v0, s2, 8, v0
	v_mov_b32_e32 v1, 0
	s_waitcnt lgkmcnt(0)
	s_mul_i32 s2, s6, s5
	s_mul_hi_u32 s3, s6, s4
	s_add_i32 s2, s3, s2
	s_mul_i32 s3, s7, s4
	s_add_i32 s3, s2, s3
	s_mul_i32 s2, s6, s4
	v_cmp_gt_i64_e32 vcc, s[2:3], v[0:1]
	s_and_saveexec_b64 s[2:3], vcc
	s_cbranch_execz .LBB45_5
; %bb.1:
	s_load_dword s2, s[0:1], 0x28
	s_load_dwordx2 s[12:13], s[0:1], 0x20
	s_waitcnt lgkmcnt(0)
	s_cmp_eq_u32 s2, 1
	s_cselect_b32 s3, s5, s7
	s_mov_b32 s2, 0
	s_cselect_b32 s16, s4, s6
	s_cmp_lg_u64 s[2:3], 0
	s_cbranch_scc0 .LBB45_6
; %bb.2:
	s_ashr_i32 s4, s3, 31
	s_add_u32 s0, s16, s4
	s_mov_b32 s5, s4
	s_addc_u32 s1, s3, s4
	s_xor_b64 s[14:15], s[0:1], s[4:5]
	v_cvt_f32_u32_e32 v2, s14
	v_cvt_f32_u32_e32 v3, s15
	s_sub_u32 s2, 0, s14
	s_subb_u32 s5, 0, s15
	v_lshl_add_u64 v[4:5], v[0:1], 0, 0
	v_fmamk_f32 v2, v3, 0x4f800000, v2
	v_rcp_f32_e32 v2, v2
	s_nop 0
	v_mul_f32_e32 v2, 0x5f7ffffc, v2
	v_mul_f32_e32 v3, 0x2f800000, v2
	v_trunc_f32_e32 v3, v3
	v_fmamk_f32 v2, v3, 0xcf800000, v2
	v_cvt_u32_f32_e32 v3, v3
	v_cvt_u32_f32_e32 v2, v2
	v_readfirstlane_b32 s17, v3
	v_readfirstlane_b32 s0, v2
	s_mul_i32 s1, s2, s17
	s_mul_hi_u32 s19, s2, s0
	s_mul_i32 s18, s5, s0
	s_add_i32 s1, s19, s1
	s_add_i32 s1, s1, s18
	s_mul_i32 s20, s2, s0
	s_mul_i32 s19, s0, s1
	s_mul_hi_u32 s21, s0, s20
	s_mul_hi_u32 s18, s0, s1
	s_add_u32 s19, s21, s19
	s_addc_u32 s18, 0, s18
	s_mul_hi_u32 s22, s17, s20
	s_mul_i32 s20, s17, s20
	s_add_u32 s19, s19, s20
	s_mul_hi_u32 s21, s17, s1
	s_addc_u32 s18, s18, s22
	s_addc_u32 s19, s21, 0
	s_mul_i32 s1, s17, s1
	s_add_u32 s1, s18, s1
	s_addc_u32 s18, 0, s19
	s_add_u32 s19, s0, s1
	s_cselect_b64 s[0:1], -1, 0
	s_cmp_lg_u64 s[0:1], 0
	s_addc_u32 s17, s17, s18
	s_mul_i32 s0, s2, s17
	s_mul_hi_u32 s1, s2, s19
	s_add_i32 s0, s1, s0
	s_mul_i32 s5, s5, s19
	s_add_i32 s0, s0, s5
	s_mul_i32 s2, s2, s19
	s_mul_hi_u32 s5, s17, s2
	s_mul_i32 s18, s17, s2
	s_mul_i32 s21, s19, s0
	s_mul_hi_u32 s2, s19, s2
	s_mul_hi_u32 s20, s19, s0
	s_add_u32 s2, s2, s21
	s_addc_u32 s20, 0, s20
	s_add_u32 s2, s2, s18
	s_mul_hi_u32 s1, s17, s0
	s_addc_u32 s2, s20, s5
	s_addc_u32 s1, s1, 0
	s_mul_i32 s0, s17, s0
	s_add_u32 s0, s2, s0
	s_addc_u32 s2, 0, s1
	s_add_u32 s5, s19, s0
	s_cselect_b64 s[0:1], -1, 0
	s_cmp_lg_u64 s[0:1], 0
	s_addc_u32 s2, s17, s2
	v_mov_b32_e32 v3, 0
	v_mad_u64_u32 v[6:7], s[0:1], v4, s2, 0
	v_mul_hi_u32 v2, v4, s5
	v_lshl_add_u64 v[6:7], v[2:3], 0, v[6:7]
	v_mad_u64_u32 v[10:11], s[0:1], v5, s5, 0
	v_add_co_u32_e32 v1, vcc, v6, v10
	v_mad_u64_u32 v[8:9], s[0:1], v5, s2, 0
	s_nop 0
	v_addc_co_u32_e32 v2, vcc, v7, v11, vcc
	s_nop 1
	v_addc_co_u32_e32 v9, vcc, 0, v9, vcc
	v_lshl_add_u64 v[2:3], v[2:3], 0, v[8:9]
	v_mul_lo_u32 v1, s15, v2
	v_mul_lo_u32 v8, s14, v3
	v_mad_u64_u32 v[6:7], s[0:1], s14, v2, 0
	v_add3_u32 v1, v7, v8, v1
	v_sub_u32_e32 v7, v5, v1
	v_mov_b32_e32 v8, s15
	v_sub_co_u32_e32 v4, vcc, v4, v6
	s_nop 1
	v_subb_co_u32_e64 v6, s[0:1], v7, v8, vcc
	v_subrev_co_u32_e64 v7, s[0:1], s14, v4
	v_subb_co_u32_e32 v1, vcc, v5, v1, vcc
	s_nop 0
	v_subbrev_co_u32_e64 v6, s[0:1], 0, v6, s[0:1]
	v_cmp_le_u32_e64 s[0:1], s15, v6
	v_cmp_le_u32_e32 vcc, s15, v1
	s_nop 0
	v_cndmask_b32_e64 v8, 0, -1, s[0:1]
	v_cmp_le_u32_e64 s[0:1], s14, v7
	v_cndmask_b32_e64 v5, 0, -1, vcc
	v_cmp_le_u32_e32 vcc, s14, v4
	v_cndmask_b32_e64 v7, 0, -1, s[0:1]
	v_cmp_eq_u32_e64 s[0:1], s15, v6
	v_cndmask_b32_e64 v4, 0, -1, vcc
	v_cmp_eq_u32_e32 vcc, s15, v1
	v_cndmask_b32_e64 v10, v8, v7, s[0:1]
	v_lshl_add_u64 v[6:7], v[2:3], 0, 2
	v_lshl_add_u64 v[8:9], v[2:3], 0, 1
	v_cmp_ne_u32_e64 s[0:1], 0, v10
	v_cndmask_b32_e32 v1, v5, v4, vcc
	v_cmp_ne_u32_e32 vcc, 0, v1
	v_cndmask_b32_e64 v7, v9, v7, s[0:1]
	s_nop 0
	v_cndmask_b32_e32 v1, v3, v7, vcc
	v_cndmask_b32_e64 v3, v8, v6, s[0:1]
	v_cndmask_b32_e32 v2, v2, v3, vcc
	v_xor_b32_e32 v2, s4, v2
	v_xor_b32_e32 v1, s4, v1
	v_mov_b32_e32 v3, s4
	v_subrev_co_u32_e32 v2, vcc, s4, v2
	s_nop 1
	v_subb_co_u32_e32 v3, vcc, v1, v3, vcc
	s_cbranch_execnz .LBB45_4
.LBB45_3:
	v_cvt_f32_u32_e32 v1, s16
	s_sub_i32 s0, 0, s16
	v_rcp_iflag_f32_e32 v1, v1
	s_nop 0
	v_mul_f32_e32 v1, 0x4f7ffffe, v1
	v_cvt_u32_f32_e32 v1, v1
	v_mul_lo_u32 v2, s0, v1
	v_mul_hi_u32 v2, v1, v2
	v_add_u32_e32 v1, v1, v2
	v_mul_hi_u32 v1, v0, v1
	v_mul_lo_u32 v2, v1, s16
	v_sub_u32_e32 v2, v0, v2
	v_add_u32_e32 v3, 1, v1
	v_subrev_u32_e32 v4, s16, v2
	v_cmp_le_u32_e32 vcc, s16, v2
	s_nop 1
	v_cndmask_b32_e32 v2, v2, v4, vcc
	v_cndmask_b32_e32 v1, v1, v3, vcc
	v_add_u32_e32 v3, 1, v1
	v_cmp_le_u32_e32 vcc, s16, v2
	s_nop 1
	v_cndmask_b32_e32 v2, v1, v3, vcc
	v_mov_b32_e32 v3, 0
.LBB45_4:
	v_mul_lo_u32 v1, v3, s16
	v_mul_lo_u32 v8, v2, s3
	v_mad_u64_u32 v[6:7], s[0:1], v2, s16, 0
	v_add3_u32 v1, v7, v8, v1
	v_sub_co_u32_e32 v0, vcc, v0, v6
	v_mov_b32_e32 v4, s12
	v_mov_b32_e32 v5, s13
	v_subb_co_u32_e32 v1, vcc, 0, v1, vcc
	v_mul_lo_u32 v6, v3, s8
	v_mul_lo_u32 v7, v2, s9
	v_mad_u64_u32 v[2:3], s[0:1], v2, s8, 0
	v_add3_u32 v3, v3, v7, v6
	v_lshl_add_u64 v[0:1], v[0:1], 3, v[4:5]
	v_mov_b32_e32 v10, s10
	v_mov_b32_e32 v11, s11
	v_lshl_add_u64 v[0:1], v[2:3], 3, v[0:1]
	global_store_dwordx2 v[0:1], v[10:11], off
.LBB45_5:
	s_endpgm
.LBB45_6:
                                        ; implicit-def: $vgpr2_vgpr3
	s_branch .LBB45_3
	.section	.rodata,"a",@progbits
	.p2align	6, 0x0
	.amdhsa_kernel _ZN9rocsparseL16valset_2d_kernelILj256EldEEvT0_S1_lT1_PS2_16rocsparse_order_
		.amdhsa_group_segment_fixed_size 0
		.amdhsa_private_segment_fixed_size 0
		.amdhsa_kernarg_size 44
		.amdhsa_user_sgpr_count 2
		.amdhsa_user_sgpr_dispatch_ptr 0
		.amdhsa_user_sgpr_queue_ptr 0
		.amdhsa_user_sgpr_kernarg_segment_ptr 1
		.amdhsa_user_sgpr_dispatch_id 0
		.amdhsa_user_sgpr_kernarg_preload_length 0
		.amdhsa_user_sgpr_kernarg_preload_offset 0
		.amdhsa_user_sgpr_private_segment_size 0
		.amdhsa_uses_dynamic_stack 0
		.amdhsa_enable_private_segment 0
		.amdhsa_system_sgpr_workgroup_id_x 1
		.amdhsa_system_sgpr_workgroup_id_y 0
		.amdhsa_system_sgpr_workgroup_id_z 0
		.amdhsa_system_sgpr_workgroup_info 0
		.amdhsa_system_vgpr_workitem_id 0
		.amdhsa_next_free_vgpr 12
		.amdhsa_next_free_sgpr 23
		.amdhsa_accum_offset 12
		.amdhsa_reserve_vcc 1
		.amdhsa_float_round_mode_32 0
		.amdhsa_float_round_mode_16_64 0
		.amdhsa_float_denorm_mode_32 3
		.amdhsa_float_denorm_mode_16_64 3
		.amdhsa_dx10_clamp 1
		.amdhsa_ieee_mode 1
		.amdhsa_fp16_overflow 0
		.amdhsa_tg_split 0
		.amdhsa_exception_fp_ieee_invalid_op 0
		.amdhsa_exception_fp_denorm_src 0
		.amdhsa_exception_fp_ieee_div_zero 0
		.amdhsa_exception_fp_ieee_overflow 0
		.amdhsa_exception_fp_ieee_underflow 0
		.amdhsa_exception_fp_ieee_inexact 0
		.amdhsa_exception_int_div_zero 0
	.end_amdhsa_kernel
	.section	.text._ZN9rocsparseL16valset_2d_kernelILj256EldEEvT0_S1_lT1_PS2_16rocsparse_order_,"axG",@progbits,_ZN9rocsparseL16valset_2d_kernelILj256EldEEvT0_S1_lT1_PS2_16rocsparse_order_,comdat
.Lfunc_end45:
	.size	_ZN9rocsparseL16valset_2d_kernelILj256EldEEvT0_S1_lT1_PS2_16rocsparse_order_, .Lfunc_end45-_ZN9rocsparseL16valset_2d_kernelILj256EldEEvT0_S1_lT1_PS2_16rocsparse_order_
                                        ; -- End function
	.set _ZN9rocsparseL16valset_2d_kernelILj256EldEEvT0_S1_lT1_PS2_16rocsparse_order_.num_vgpr, 12
	.set _ZN9rocsparseL16valset_2d_kernelILj256EldEEvT0_S1_lT1_PS2_16rocsparse_order_.num_agpr, 0
	.set _ZN9rocsparseL16valset_2d_kernelILj256EldEEvT0_S1_lT1_PS2_16rocsparse_order_.numbered_sgpr, 23
	.set _ZN9rocsparseL16valset_2d_kernelILj256EldEEvT0_S1_lT1_PS2_16rocsparse_order_.num_named_barrier, 0
	.set _ZN9rocsparseL16valset_2d_kernelILj256EldEEvT0_S1_lT1_PS2_16rocsparse_order_.private_seg_size, 0
	.set _ZN9rocsparseL16valset_2d_kernelILj256EldEEvT0_S1_lT1_PS2_16rocsparse_order_.uses_vcc, 1
	.set _ZN9rocsparseL16valset_2d_kernelILj256EldEEvT0_S1_lT1_PS2_16rocsparse_order_.uses_flat_scratch, 0
	.set _ZN9rocsparseL16valset_2d_kernelILj256EldEEvT0_S1_lT1_PS2_16rocsparse_order_.has_dyn_sized_stack, 0
	.set _ZN9rocsparseL16valset_2d_kernelILj256EldEEvT0_S1_lT1_PS2_16rocsparse_order_.has_recursion, 0
	.set _ZN9rocsparseL16valset_2d_kernelILj256EldEEvT0_S1_lT1_PS2_16rocsparse_order_.has_indirect_call, 0
	.section	.AMDGPU.csdata,"",@progbits
; Kernel info:
; codeLenInByte = 952
; TotalNumSgprs: 29
; NumVgprs: 12
; NumAgprs: 0
; TotalNumVgprs: 12
; ScratchSize: 0
; MemoryBound: 0
; FloatMode: 240
; IeeeMode: 1
; LDSByteSize: 0 bytes/workgroup (compile time only)
; SGPRBlocks: 3
; VGPRBlocks: 1
; NumSGPRsForWavesPerEU: 29
; NumVGPRsForWavesPerEU: 12
; AccumOffset: 12
; Occupancy: 8
; WaveLimiterHint : 0
; COMPUTE_PGM_RSRC2:SCRATCH_EN: 0
; COMPUTE_PGM_RSRC2:USER_SGPR: 2
; COMPUTE_PGM_RSRC2:TRAP_HANDLER: 0
; COMPUTE_PGM_RSRC2:TGID_X_EN: 1
; COMPUTE_PGM_RSRC2:TGID_Y_EN: 0
; COMPUTE_PGM_RSRC2:TGID_Z_EN: 0
; COMPUTE_PGM_RSRC2:TIDIG_COMP_CNT: 0
; COMPUTE_PGM_RSRC3_GFX90A:ACCUM_OFFSET: 2
; COMPUTE_PGM_RSRC3_GFX90A:TG_SPLIT: 0
	.section	.text._ZN9rocsparseL16valset_2d_kernelILj256El21rocsparse_complex_numIfEEEvT0_S3_lT1_PS4_16rocsparse_order_,"axG",@progbits,_ZN9rocsparseL16valset_2d_kernelILj256El21rocsparse_complex_numIfEEEvT0_S3_lT1_PS4_16rocsparse_order_,comdat
	.globl	_ZN9rocsparseL16valset_2d_kernelILj256El21rocsparse_complex_numIfEEEvT0_S3_lT1_PS4_16rocsparse_order_ ; -- Begin function _ZN9rocsparseL16valset_2d_kernelILj256El21rocsparse_complex_numIfEEEvT0_S3_lT1_PS4_16rocsparse_order_
	.p2align	8
	.type	_ZN9rocsparseL16valset_2d_kernelILj256El21rocsparse_complex_numIfEEEvT0_S3_lT1_PS4_16rocsparse_order_,@function
_ZN9rocsparseL16valset_2d_kernelILj256El21rocsparse_complex_numIfEEEvT0_S3_lT1_PS4_16rocsparse_order_: ; @_ZN9rocsparseL16valset_2d_kernelILj256El21rocsparse_complex_numIfEEEvT0_S3_lT1_PS4_16rocsparse_order_
; %bb.0:
	s_load_dwordx4 s[4:7], s[0:1], 0x0
	v_lshl_or_b32 v0, s2, 8, v0
	v_mov_b32_e32 v1, 0
	s_waitcnt lgkmcnt(0)
	s_mul_i32 s2, s6, s5
	s_mul_hi_u32 s3, s6, s4
	s_add_i32 s2, s3, s2
	s_mul_i32 s3, s7, s4
	s_add_i32 s3, s2, s3
	s_mul_i32 s2, s6, s4
	v_cmp_gt_i64_e32 vcc, s[2:3], v[0:1]
	s_and_saveexec_b64 s[2:3], vcc
	s_cbranch_execz .LBB46_5
; %bb.1:
	s_load_dword s2, s[0:1], 0x28
	s_load_dwordx2 s[8:9], s[0:1], 0x10
	s_waitcnt lgkmcnt(0)
	s_cmp_eq_u32 s2, 1
	s_cselect_b32 s5, s5, s7
	s_cselect_b32 s14, s4, s6
	s_mov_b32 s4, 0
	s_cmp_lg_u64 s[4:5], 0
	s_cbranch_scc0 .LBB46_6
; %bb.2:
	s_ashr_i32 s6, s5, 31
	s_add_u32 s2, s14, s6
	s_mov_b32 s7, s6
	s_addc_u32 s3, s5, s6
	s_xor_b64 s[12:13], s[2:3], s[6:7]
	v_cvt_f32_u32_e32 v2, s12
	v_cvt_f32_u32_e32 v3, s13
	s_sub_u32 s4, 0, s12
	s_subb_u32 s7, 0, s13
	v_lshl_add_u64 v[4:5], v[0:1], 0, 0
	v_fmamk_f32 v2, v3, 0x4f800000, v2
	v_rcp_f32_e32 v2, v2
	s_nop 0
	v_mul_f32_e32 v2, 0x5f7ffffc, v2
	v_mul_f32_e32 v3, 0x2f800000, v2
	v_trunc_f32_e32 v3, v3
	v_fmamk_f32 v2, v3, 0xcf800000, v2
	v_cvt_u32_f32_e32 v3, v3
	v_cvt_u32_f32_e32 v2, v2
	v_readfirstlane_b32 s15, v3
	v_readfirstlane_b32 s2, v2
	s_mul_i32 s3, s4, s15
	s_mul_hi_u32 s17, s4, s2
	s_mul_i32 s16, s7, s2
	s_add_i32 s3, s17, s3
	s_add_i32 s3, s3, s16
	s_mul_i32 s18, s4, s2
	s_mul_i32 s17, s2, s3
	s_mul_hi_u32 s19, s2, s18
	s_mul_hi_u32 s16, s2, s3
	s_add_u32 s17, s19, s17
	s_addc_u32 s16, 0, s16
	s_mul_hi_u32 s20, s15, s18
	s_mul_i32 s18, s15, s18
	s_add_u32 s17, s17, s18
	s_mul_hi_u32 s19, s15, s3
	s_addc_u32 s16, s16, s20
	s_addc_u32 s17, s19, 0
	s_mul_i32 s3, s15, s3
	s_add_u32 s3, s16, s3
	s_addc_u32 s16, 0, s17
	s_add_u32 s17, s2, s3
	s_cselect_b64 s[2:3], -1, 0
	s_cmp_lg_u64 s[2:3], 0
	s_addc_u32 s15, s15, s16
	s_mul_i32 s2, s4, s15
	s_mul_hi_u32 s3, s4, s17
	s_add_i32 s2, s3, s2
	s_mul_i32 s7, s7, s17
	s_add_i32 s2, s2, s7
	s_mul_i32 s4, s4, s17
	s_mul_hi_u32 s7, s15, s4
	s_mul_i32 s16, s15, s4
	s_mul_i32 s19, s17, s2
	s_mul_hi_u32 s4, s17, s4
	s_mul_hi_u32 s18, s17, s2
	s_add_u32 s4, s4, s19
	s_addc_u32 s18, 0, s18
	s_add_u32 s4, s4, s16
	s_mul_hi_u32 s3, s15, s2
	s_addc_u32 s4, s18, s7
	s_addc_u32 s3, s3, 0
	s_mul_i32 s2, s15, s2
	s_add_u32 s2, s4, s2
	s_addc_u32 s4, 0, s3
	s_add_u32 s7, s17, s2
	s_cselect_b64 s[2:3], -1, 0
	s_cmp_lg_u64 s[2:3], 0
	s_addc_u32 s4, s15, s4
	v_mov_b32_e32 v3, 0
	v_mad_u64_u32 v[6:7], s[2:3], v4, s4, 0
	v_mul_hi_u32 v2, v4, s7
	v_lshl_add_u64 v[6:7], v[2:3], 0, v[6:7]
	v_mad_u64_u32 v[10:11], s[2:3], v5, s7, 0
	v_add_co_u32_e32 v1, vcc, v6, v10
	v_mad_u64_u32 v[8:9], s[2:3], v5, s4, 0
	s_nop 0
	v_addc_co_u32_e32 v2, vcc, v7, v11, vcc
	s_nop 1
	v_addc_co_u32_e32 v9, vcc, 0, v9, vcc
	v_lshl_add_u64 v[2:3], v[2:3], 0, v[8:9]
	v_mul_lo_u32 v1, s13, v2
	v_mul_lo_u32 v8, s12, v3
	v_mad_u64_u32 v[6:7], s[2:3], s12, v2, 0
	v_add3_u32 v1, v7, v8, v1
	v_sub_u32_e32 v7, v5, v1
	v_mov_b32_e32 v8, s13
	v_sub_co_u32_e32 v4, vcc, v4, v6
	s_nop 1
	v_subb_co_u32_e64 v6, s[2:3], v7, v8, vcc
	v_subrev_co_u32_e64 v7, s[2:3], s12, v4
	v_subb_co_u32_e32 v1, vcc, v5, v1, vcc
	s_nop 0
	v_subbrev_co_u32_e64 v6, s[2:3], 0, v6, s[2:3]
	v_cmp_le_u32_e64 s[2:3], s13, v6
	v_cmp_le_u32_e32 vcc, s13, v1
	s_nop 0
	v_cndmask_b32_e64 v8, 0, -1, s[2:3]
	v_cmp_le_u32_e64 s[2:3], s12, v7
	v_cndmask_b32_e64 v5, 0, -1, vcc
	v_cmp_le_u32_e32 vcc, s12, v4
	v_cndmask_b32_e64 v7, 0, -1, s[2:3]
	v_cmp_eq_u32_e64 s[2:3], s13, v6
	v_cndmask_b32_e64 v4, 0, -1, vcc
	v_cmp_eq_u32_e32 vcc, s13, v1
	v_cndmask_b32_e64 v10, v8, v7, s[2:3]
	v_lshl_add_u64 v[6:7], v[2:3], 0, 2
	v_lshl_add_u64 v[8:9], v[2:3], 0, 1
	v_cmp_ne_u32_e64 s[2:3], 0, v10
	v_cndmask_b32_e32 v1, v5, v4, vcc
	v_cmp_ne_u32_e32 vcc, 0, v1
	v_cndmask_b32_e64 v7, v9, v7, s[2:3]
	s_nop 0
	v_cndmask_b32_e32 v1, v3, v7, vcc
	v_cndmask_b32_e64 v3, v8, v6, s[2:3]
	v_cndmask_b32_e32 v2, v2, v3, vcc
	v_xor_b32_e32 v2, s6, v2
	v_xor_b32_e32 v1, s6, v1
	v_mov_b32_e32 v3, s6
	v_subrev_co_u32_e32 v2, vcc, s6, v2
	s_nop 1
	v_subb_co_u32_e32 v3, vcc, v1, v3, vcc
	s_cbranch_execnz .LBB46_4
.LBB46_3:
	v_cvt_f32_u32_e32 v1, s14
	s_sub_i32 s2, 0, s14
	v_rcp_iflag_f32_e32 v1, v1
	s_nop 0
	v_mul_f32_e32 v1, 0x4f7ffffe, v1
	v_cvt_u32_f32_e32 v1, v1
	v_mul_lo_u32 v2, s2, v1
	v_mul_hi_u32 v2, v1, v2
	v_add_u32_e32 v1, v1, v2
	v_mul_hi_u32 v1, v0, v1
	v_mul_lo_u32 v2, v1, s14
	v_sub_u32_e32 v2, v0, v2
	v_add_u32_e32 v3, 1, v1
	v_subrev_u32_e32 v4, s14, v2
	v_cmp_le_u32_e32 vcc, s14, v2
	s_nop 1
	v_cndmask_b32_e32 v2, v2, v4, vcc
	v_cndmask_b32_e32 v1, v1, v3, vcc
	v_add_u32_e32 v3, 1, v1
	v_cmp_le_u32_e32 vcc, s14, v2
	s_nop 1
	v_cndmask_b32_e32 v2, v1, v3, vcc
	v_mov_b32_e32 v3, 0
.LBB46_4:
	s_load_dwordx4 s[16:19], s[0:1], 0x18
	v_mul_lo_u32 v1, v3, s14
	v_mul_lo_u32 v6, v2, s5
	v_mad_u64_u32 v[4:5], s[0:1], v2, s14, 0
	v_add3_u32 v1, v5, v6, v1
	v_sub_co_u32_e32 v0, vcc, v0, v4
	v_mul_lo_u32 v4, v3, s8
	s_nop 0
	v_subb_co_u32_e32 v1, vcc, 0, v1, vcc
	v_mul_lo_u32 v5, v2, s9
	v_mad_u64_u32 v[2:3], s[0:1], v2, s8, 0
	v_add3_u32 v3, v3, v5, v4
	s_waitcnt lgkmcnt(0)
	v_lshl_add_u64 v[0:1], v[0:1], 3, s[18:19]
	v_lshl_add_u64 v[0:1], v[2:3], 3, v[0:1]
	v_mov_b64_e32 v[2:3], s[16:17]
	global_store_dwordx2 v[0:1], v[2:3], off
.LBB46_5:
	s_endpgm
.LBB46_6:
                                        ; implicit-def: $vgpr2_vgpr3
	s_branch .LBB46_3
	.section	.rodata,"a",@progbits
	.p2align	6, 0x0
	.amdhsa_kernel _ZN9rocsparseL16valset_2d_kernelILj256El21rocsparse_complex_numIfEEEvT0_S3_lT1_PS4_16rocsparse_order_
		.amdhsa_group_segment_fixed_size 0
		.amdhsa_private_segment_fixed_size 0
		.amdhsa_kernarg_size 44
		.amdhsa_user_sgpr_count 2
		.amdhsa_user_sgpr_dispatch_ptr 0
		.amdhsa_user_sgpr_queue_ptr 0
		.amdhsa_user_sgpr_kernarg_segment_ptr 1
		.amdhsa_user_sgpr_dispatch_id 0
		.amdhsa_user_sgpr_kernarg_preload_length 0
		.amdhsa_user_sgpr_kernarg_preload_offset 0
		.amdhsa_user_sgpr_private_segment_size 0
		.amdhsa_uses_dynamic_stack 0
		.amdhsa_enable_private_segment 0
		.amdhsa_system_sgpr_workgroup_id_x 1
		.amdhsa_system_sgpr_workgroup_id_y 0
		.amdhsa_system_sgpr_workgroup_id_z 0
		.amdhsa_system_sgpr_workgroup_info 0
		.amdhsa_system_vgpr_workitem_id 0
		.amdhsa_next_free_vgpr 12
		.amdhsa_next_free_sgpr 21
		.amdhsa_accum_offset 12
		.amdhsa_reserve_vcc 1
		.amdhsa_float_round_mode_32 0
		.amdhsa_float_round_mode_16_64 0
		.amdhsa_float_denorm_mode_32 3
		.amdhsa_float_denorm_mode_16_64 3
		.amdhsa_dx10_clamp 1
		.amdhsa_ieee_mode 1
		.amdhsa_fp16_overflow 0
		.amdhsa_tg_split 0
		.amdhsa_exception_fp_ieee_invalid_op 0
		.amdhsa_exception_fp_denorm_src 0
		.amdhsa_exception_fp_ieee_div_zero 0
		.amdhsa_exception_fp_ieee_overflow 0
		.amdhsa_exception_fp_ieee_underflow 0
		.amdhsa_exception_fp_ieee_inexact 0
		.amdhsa_exception_int_div_zero 0
	.end_amdhsa_kernel
	.section	.text._ZN9rocsparseL16valset_2d_kernelILj256El21rocsparse_complex_numIfEEEvT0_S3_lT1_PS4_16rocsparse_order_,"axG",@progbits,_ZN9rocsparseL16valset_2d_kernelILj256El21rocsparse_complex_numIfEEEvT0_S3_lT1_PS4_16rocsparse_order_,comdat
.Lfunc_end46:
	.size	_ZN9rocsparseL16valset_2d_kernelILj256El21rocsparse_complex_numIfEEEvT0_S3_lT1_PS4_16rocsparse_order_, .Lfunc_end46-_ZN9rocsparseL16valset_2d_kernelILj256El21rocsparse_complex_numIfEEEvT0_S3_lT1_PS4_16rocsparse_order_
                                        ; -- End function
	.set _ZN9rocsparseL16valset_2d_kernelILj256El21rocsparse_complex_numIfEEEvT0_S3_lT1_PS4_16rocsparse_order_.num_vgpr, 12
	.set _ZN9rocsparseL16valset_2d_kernelILj256El21rocsparse_complex_numIfEEEvT0_S3_lT1_PS4_16rocsparse_order_.num_agpr, 0
	.set _ZN9rocsparseL16valset_2d_kernelILj256El21rocsparse_complex_numIfEEEvT0_S3_lT1_PS4_16rocsparse_order_.numbered_sgpr, 21
	.set _ZN9rocsparseL16valset_2d_kernelILj256El21rocsparse_complex_numIfEEEvT0_S3_lT1_PS4_16rocsparse_order_.num_named_barrier, 0
	.set _ZN9rocsparseL16valset_2d_kernelILj256El21rocsparse_complex_numIfEEEvT0_S3_lT1_PS4_16rocsparse_order_.private_seg_size, 0
	.set _ZN9rocsparseL16valset_2d_kernelILj256El21rocsparse_complex_numIfEEEvT0_S3_lT1_PS4_16rocsparse_order_.uses_vcc, 1
	.set _ZN9rocsparseL16valset_2d_kernelILj256El21rocsparse_complex_numIfEEEvT0_S3_lT1_PS4_16rocsparse_order_.uses_flat_scratch, 0
	.set _ZN9rocsparseL16valset_2d_kernelILj256El21rocsparse_complex_numIfEEEvT0_S3_lT1_PS4_16rocsparse_order_.has_dyn_sized_stack, 0
	.set _ZN9rocsparseL16valset_2d_kernelILj256El21rocsparse_complex_numIfEEEvT0_S3_lT1_PS4_16rocsparse_order_.has_recursion, 0
	.set _ZN9rocsparseL16valset_2d_kernelILj256El21rocsparse_complex_numIfEEEvT0_S3_lT1_PS4_16rocsparse_order_.has_indirect_call, 0
	.section	.AMDGPU.csdata,"",@progbits
; Kernel info:
; codeLenInByte = 956
; TotalNumSgprs: 27
; NumVgprs: 12
; NumAgprs: 0
; TotalNumVgprs: 12
; ScratchSize: 0
; MemoryBound: 0
; FloatMode: 240
; IeeeMode: 1
; LDSByteSize: 0 bytes/workgroup (compile time only)
; SGPRBlocks: 3
; VGPRBlocks: 1
; NumSGPRsForWavesPerEU: 27
; NumVGPRsForWavesPerEU: 12
; AccumOffset: 12
; Occupancy: 8
; WaveLimiterHint : 0
; COMPUTE_PGM_RSRC2:SCRATCH_EN: 0
; COMPUTE_PGM_RSRC2:USER_SGPR: 2
; COMPUTE_PGM_RSRC2:TRAP_HANDLER: 0
; COMPUTE_PGM_RSRC2:TGID_X_EN: 1
; COMPUTE_PGM_RSRC2:TGID_Y_EN: 0
; COMPUTE_PGM_RSRC2:TGID_Z_EN: 0
; COMPUTE_PGM_RSRC2:TIDIG_COMP_CNT: 0
; COMPUTE_PGM_RSRC3_GFX90A:ACCUM_OFFSET: 2
; COMPUTE_PGM_RSRC3_GFX90A:TG_SPLIT: 0
	.section	.text._ZN9rocsparseL16valset_2d_kernelILj256El21rocsparse_complex_numIdEEEvT0_S3_lT1_PS4_16rocsparse_order_,"axG",@progbits,_ZN9rocsparseL16valset_2d_kernelILj256El21rocsparse_complex_numIdEEEvT0_S3_lT1_PS4_16rocsparse_order_,comdat
	.globl	_ZN9rocsparseL16valset_2d_kernelILj256El21rocsparse_complex_numIdEEEvT0_S3_lT1_PS4_16rocsparse_order_ ; -- Begin function _ZN9rocsparseL16valset_2d_kernelILj256El21rocsparse_complex_numIdEEEvT0_S3_lT1_PS4_16rocsparse_order_
	.p2align	8
	.type	_ZN9rocsparseL16valset_2d_kernelILj256El21rocsparse_complex_numIdEEEvT0_S3_lT1_PS4_16rocsparse_order_,@function
_ZN9rocsparseL16valset_2d_kernelILj256El21rocsparse_complex_numIdEEEvT0_S3_lT1_PS4_16rocsparse_order_: ; @_ZN9rocsparseL16valset_2d_kernelILj256El21rocsparse_complex_numIdEEEvT0_S3_lT1_PS4_16rocsparse_order_
; %bb.0:
	s_load_dwordx4 s[4:7], s[0:1], 0x0
	v_lshl_or_b32 v0, s2, 8, v0
	v_mov_b32_e32 v1, 0
	s_waitcnt lgkmcnt(0)
	s_mul_i32 s2, s6, s5
	s_mul_hi_u32 s3, s6, s4
	s_add_i32 s2, s3, s2
	s_mul_i32 s3, s7, s4
	s_add_i32 s3, s2, s3
	s_mul_i32 s2, s6, s4
	v_cmp_gt_i64_e32 vcc, s[2:3], v[0:1]
	s_and_saveexec_b64 s[2:3], vcc
	s_cbranch_execz .LBB47_5
; %bb.1:
	s_load_dword s2, s[0:1], 0x30
	s_load_dwordx2 s[8:9], s[0:1], 0x10
	s_mov_b32 s10, 0
	s_waitcnt lgkmcnt(0)
	s_cmp_eq_u32 s2, 1
	s_cselect_b32 s11, s5, s7
	s_cselect_b32 s14, s4, s6
	s_cmp_lg_u64 s[10:11], 0
	s_cbranch_scc0 .LBB47_6
; %bb.2:
	s_ashr_i32 s4, s11, 31
	s_add_u32 s2, s14, s4
	s_mov_b32 s5, s4
	s_addc_u32 s3, s11, s4
	s_xor_b64 s[6:7], s[2:3], s[4:5]
	v_cvt_f32_u32_e32 v2, s6
	v_cvt_f32_u32_e32 v3, s7
	s_sub_u32 s5, 0, s6
	s_subb_u32 s10, 0, s7
	v_lshl_add_u64 v[4:5], v[0:1], 0, 0
	v_fmamk_f32 v2, v3, 0x4f800000, v2
	v_rcp_f32_e32 v2, v2
	s_nop 0
	v_mul_f32_e32 v2, 0x5f7ffffc, v2
	v_mul_f32_e32 v3, 0x2f800000, v2
	v_trunc_f32_e32 v3, v3
	v_fmamk_f32 v2, v3, 0xcf800000, v2
	v_cvt_u32_f32_e32 v3, v3
	v_cvt_u32_f32_e32 v2, v2
	v_readfirstlane_b32 s15, v3
	v_readfirstlane_b32 s2, v2
	s_mul_i32 s3, s5, s15
	s_mul_hi_u32 s17, s5, s2
	s_mul_i32 s16, s10, s2
	s_add_i32 s3, s17, s3
	s_add_i32 s3, s3, s16
	s_mul_i32 s18, s5, s2
	s_mul_i32 s17, s2, s3
	s_mul_hi_u32 s19, s2, s18
	s_mul_hi_u32 s16, s2, s3
	s_add_u32 s17, s19, s17
	s_addc_u32 s16, 0, s16
	s_mul_hi_u32 s20, s15, s18
	s_mul_i32 s18, s15, s18
	s_add_u32 s17, s17, s18
	s_mul_hi_u32 s19, s15, s3
	s_addc_u32 s16, s16, s20
	s_addc_u32 s17, s19, 0
	s_mul_i32 s3, s15, s3
	s_add_u32 s3, s16, s3
	s_addc_u32 s16, 0, s17
	s_add_u32 s17, s2, s3
	s_cselect_b64 s[2:3], -1, 0
	s_cmp_lg_u64 s[2:3], 0
	s_addc_u32 s15, s15, s16
	s_mul_i32 s2, s5, s15
	s_mul_hi_u32 s3, s5, s17
	s_add_i32 s2, s3, s2
	s_mul_i32 s10, s10, s17
	s_add_i32 s2, s2, s10
	s_mul_i32 s5, s5, s17
	s_mul_hi_u32 s10, s15, s5
	s_mul_i32 s16, s15, s5
	s_mul_i32 s19, s17, s2
	s_mul_hi_u32 s5, s17, s5
	s_mul_hi_u32 s18, s17, s2
	s_add_u32 s5, s5, s19
	s_addc_u32 s18, 0, s18
	s_add_u32 s5, s5, s16
	s_mul_hi_u32 s3, s15, s2
	s_addc_u32 s5, s18, s10
	s_addc_u32 s3, s3, 0
	s_mul_i32 s2, s15, s2
	s_add_u32 s2, s5, s2
	s_addc_u32 s5, 0, s3
	s_add_u32 s10, s17, s2
	s_cselect_b64 s[2:3], -1, 0
	s_cmp_lg_u64 s[2:3], 0
	s_addc_u32 s5, s15, s5
	v_mov_b32_e32 v3, 0
	v_mad_u64_u32 v[6:7], s[2:3], v4, s5, 0
	v_mul_hi_u32 v2, v4, s10
	v_lshl_add_u64 v[6:7], v[2:3], 0, v[6:7]
	v_mad_u64_u32 v[10:11], s[2:3], v5, s10, 0
	v_add_co_u32_e32 v1, vcc, v6, v10
	v_mad_u64_u32 v[8:9], s[2:3], v5, s5, 0
	s_nop 0
	v_addc_co_u32_e32 v2, vcc, v7, v11, vcc
	s_nop 1
	v_addc_co_u32_e32 v9, vcc, 0, v9, vcc
	v_lshl_add_u64 v[2:3], v[2:3], 0, v[8:9]
	v_mul_lo_u32 v1, s7, v2
	v_mul_lo_u32 v8, s6, v3
	v_mad_u64_u32 v[6:7], s[2:3], s6, v2, 0
	v_add3_u32 v1, v7, v8, v1
	v_sub_u32_e32 v7, v5, v1
	v_mov_b32_e32 v8, s7
	v_sub_co_u32_e32 v4, vcc, v4, v6
	s_nop 1
	v_subb_co_u32_e64 v6, s[2:3], v7, v8, vcc
	v_subrev_co_u32_e64 v7, s[2:3], s6, v4
	v_subb_co_u32_e32 v1, vcc, v5, v1, vcc
	s_nop 0
	v_subbrev_co_u32_e64 v6, s[2:3], 0, v6, s[2:3]
	v_cmp_le_u32_e64 s[2:3], s7, v6
	v_cmp_le_u32_e32 vcc, s7, v1
	s_nop 0
	v_cndmask_b32_e64 v8, 0, -1, s[2:3]
	v_cmp_le_u32_e64 s[2:3], s6, v7
	v_cndmask_b32_e64 v5, 0, -1, vcc
	v_cmp_le_u32_e32 vcc, s6, v4
	v_cndmask_b32_e64 v7, 0, -1, s[2:3]
	v_cmp_eq_u32_e64 s[2:3], s7, v6
	v_cndmask_b32_e64 v4, 0, -1, vcc
	v_cmp_eq_u32_e32 vcc, s7, v1
	v_cndmask_b32_e64 v10, v8, v7, s[2:3]
	v_lshl_add_u64 v[6:7], v[2:3], 0, 2
	v_lshl_add_u64 v[8:9], v[2:3], 0, 1
	v_cmp_ne_u32_e64 s[2:3], 0, v10
	v_cndmask_b32_e32 v1, v5, v4, vcc
	v_cmp_ne_u32_e32 vcc, 0, v1
	v_cndmask_b32_e64 v7, v9, v7, s[2:3]
	s_nop 0
	v_cndmask_b32_e32 v1, v3, v7, vcc
	v_cndmask_b32_e64 v3, v8, v6, s[2:3]
	v_cndmask_b32_e32 v2, v2, v3, vcc
	v_xor_b32_e32 v2, s4, v2
	v_xor_b32_e32 v1, s4, v1
	v_mov_b32_e32 v3, s4
	v_subrev_co_u32_e32 v2, vcc, s4, v2
	s_nop 1
	v_subb_co_u32_e32 v3, vcc, v1, v3, vcc
	s_load_dwordx4 s[4:7], s[0:1], 0x18
	s_cbranch_execnz .LBB47_4
.LBB47_3:
	v_cvt_f32_u32_e32 v1, s14
	s_sub_i32 s2, 0, s14
	v_rcp_iflag_f32_e32 v1, v1
	s_nop 0
	v_mul_f32_e32 v1, 0x4f7ffffe, v1
	v_cvt_u32_f32_e32 v1, v1
	v_mul_lo_u32 v2, s2, v1
	v_mul_hi_u32 v2, v1, v2
	v_add_u32_e32 v1, v1, v2
	v_mul_hi_u32 v1, v0, v1
	v_mul_lo_u32 v2, v1, s14
	v_sub_u32_e32 v2, v0, v2
	v_add_u32_e32 v3, 1, v1
	v_subrev_u32_e32 v4, s14, v2
	v_cmp_le_u32_e32 vcc, s14, v2
	s_nop 1
	v_cndmask_b32_e32 v2, v2, v4, vcc
	v_cndmask_b32_e32 v1, v1, v3, vcc
	v_add_u32_e32 v3, 1, v1
	v_cmp_le_u32_e32 vcc, s14, v2
	s_nop 1
	v_cndmask_b32_e32 v2, v1, v3, vcc
	v_mov_b32_e32 v3, 0
.LBB47_4:
	s_load_dwordx2 s[0:1], s[0:1], 0x28
	v_mul_lo_u32 v1, v3, s14
	v_mul_lo_u32 v6, v2, s11
	v_mad_u64_u32 v[4:5], s[2:3], v2, s14, 0
	v_add3_u32 v1, v5, v6, v1
	v_sub_co_u32_e32 v0, vcc, v0, v4
	v_mul_lo_u32 v4, v3, s8
	s_nop 0
	v_subb_co_u32_e32 v1, vcc, 0, v1, vcc
	v_mul_lo_u32 v5, v2, s9
	v_mad_u64_u32 v[2:3], s[2:3], v2, s8, 0
	v_add3_u32 v3, v3, v5, v4
	s_waitcnt lgkmcnt(0)
	v_lshl_add_u64 v[0:1], v[0:1], 4, s[0:1]
	v_lshl_add_u64 v[0:1], v[2:3], 4, v[0:1]
	v_mov_b64_e32 v[2:3], s[4:5]
	v_mov_b64_e32 v[4:5], s[6:7]
	global_store_dwordx4 v[0:1], v[2:5], off
.LBB47_5:
	s_endpgm
.LBB47_6:
                                        ; implicit-def: $vgpr2_vgpr3
	s_load_dwordx4 s[4:7], s[0:1], 0x18
	s_branch .LBB47_3
	.section	.rodata,"a",@progbits
	.p2align	6, 0x0
	.amdhsa_kernel _ZN9rocsparseL16valset_2d_kernelILj256El21rocsparse_complex_numIdEEEvT0_S3_lT1_PS4_16rocsparse_order_
		.amdhsa_group_segment_fixed_size 0
		.amdhsa_private_segment_fixed_size 0
		.amdhsa_kernarg_size 52
		.amdhsa_user_sgpr_count 2
		.amdhsa_user_sgpr_dispatch_ptr 0
		.amdhsa_user_sgpr_queue_ptr 0
		.amdhsa_user_sgpr_kernarg_segment_ptr 1
		.amdhsa_user_sgpr_dispatch_id 0
		.amdhsa_user_sgpr_kernarg_preload_length 0
		.amdhsa_user_sgpr_kernarg_preload_offset 0
		.amdhsa_user_sgpr_private_segment_size 0
		.amdhsa_uses_dynamic_stack 0
		.amdhsa_enable_private_segment 0
		.amdhsa_system_sgpr_workgroup_id_x 1
		.amdhsa_system_sgpr_workgroup_id_y 0
		.amdhsa_system_sgpr_workgroup_id_z 0
		.amdhsa_system_sgpr_workgroup_info 0
		.amdhsa_system_vgpr_workitem_id 0
		.amdhsa_next_free_vgpr 12
		.amdhsa_next_free_sgpr 21
		.amdhsa_accum_offset 12
		.amdhsa_reserve_vcc 1
		.amdhsa_float_round_mode_32 0
		.amdhsa_float_round_mode_16_64 0
		.amdhsa_float_denorm_mode_32 3
		.amdhsa_float_denorm_mode_16_64 3
		.amdhsa_dx10_clamp 1
		.amdhsa_ieee_mode 1
		.amdhsa_fp16_overflow 0
		.amdhsa_tg_split 0
		.amdhsa_exception_fp_ieee_invalid_op 0
		.amdhsa_exception_fp_denorm_src 0
		.amdhsa_exception_fp_ieee_div_zero 0
		.amdhsa_exception_fp_ieee_overflow 0
		.amdhsa_exception_fp_ieee_underflow 0
		.amdhsa_exception_fp_ieee_inexact 0
		.amdhsa_exception_int_div_zero 0
	.end_amdhsa_kernel
	.section	.text._ZN9rocsparseL16valset_2d_kernelILj256El21rocsparse_complex_numIdEEEvT0_S3_lT1_PS4_16rocsparse_order_,"axG",@progbits,_ZN9rocsparseL16valset_2d_kernelILj256El21rocsparse_complex_numIdEEEvT0_S3_lT1_PS4_16rocsparse_order_,comdat
.Lfunc_end47:
	.size	_ZN9rocsparseL16valset_2d_kernelILj256El21rocsparse_complex_numIdEEEvT0_S3_lT1_PS4_16rocsparse_order_, .Lfunc_end47-_ZN9rocsparseL16valset_2d_kernelILj256El21rocsparse_complex_numIdEEEvT0_S3_lT1_PS4_16rocsparse_order_
                                        ; -- End function
	.set _ZN9rocsparseL16valset_2d_kernelILj256El21rocsparse_complex_numIdEEEvT0_S3_lT1_PS4_16rocsparse_order_.num_vgpr, 12
	.set _ZN9rocsparseL16valset_2d_kernelILj256El21rocsparse_complex_numIdEEEvT0_S3_lT1_PS4_16rocsparse_order_.num_agpr, 0
	.set _ZN9rocsparseL16valset_2d_kernelILj256El21rocsparse_complex_numIdEEEvT0_S3_lT1_PS4_16rocsparse_order_.numbered_sgpr, 21
	.set _ZN9rocsparseL16valset_2d_kernelILj256El21rocsparse_complex_numIdEEEvT0_S3_lT1_PS4_16rocsparse_order_.num_named_barrier, 0
	.set _ZN9rocsparseL16valset_2d_kernelILj256El21rocsparse_complex_numIdEEEvT0_S3_lT1_PS4_16rocsparse_order_.private_seg_size, 0
	.set _ZN9rocsparseL16valset_2d_kernelILj256El21rocsparse_complex_numIdEEEvT0_S3_lT1_PS4_16rocsparse_order_.uses_vcc, 1
	.set _ZN9rocsparseL16valset_2d_kernelILj256El21rocsparse_complex_numIdEEEvT0_S3_lT1_PS4_16rocsparse_order_.uses_flat_scratch, 0
	.set _ZN9rocsparseL16valset_2d_kernelILj256El21rocsparse_complex_numIdEEEvT0_S3_lT1_PS4_16rocsparse_order_.has_dyn_sized_stack, 0
	.set _ZN9rocsparseL16valset_2d_kernelILj256El21rocsparse_complex_numIdEEEvT0_S3_lT1_PS4_16rocsparse_order_.has_recursion, 0
	.set _ZN9rocsparseL16valset_2d_kernelILj256El21rocsparse_complex_numIdEEEvT0_S3_lT1_PS4_16rocsparse_order_.has_indirect_call, 0
	.section	.AMDGPU.csdata,"",@progbits
; Kernel info:
; codeLenInByte = 976
; TotalNumSgprs: 27
; NumVgprs: 12
; NumAgprs: 0
; TotalNumVgprs: 12
; ScratchSize: 0
; MemoryBound: 0
; FloatMode: 240
; IeeeMode: 1
; LDSByteSize: 0 bytes/workgroup (compile time only)
; SGPRBlocks: 3
; VGPRBlocks: 1
; NumSGPRsForWavesPerEU: 27
; NumVGPRsForWavesPerEU: 12
; AccumOffset: 12
; Occupancy: 8
; WaveLimiterHint : 0
; COMPUTE_PGM_RSRC2:SCRATCH_EN: 0
; COMPUTE_PGM_RSRC2:USER_SGPR: 2
; COMPUTE_PGM_RSRC2:TRAP_HANDLER: 0
; COMPUTE_PGM_RSRC2:TGID_X_EN: 1
; COMPUTE_PGM_RSRC2:TGID_Y_EN: 0
; COMPUTE_PGM_RSRC2:TGID_Z_EN: 0
; COMPUTE_PGM_RSRC2:TIDIG_COMP_CNT: 0
; COMPUTE_PGM_RSRC3_GFX90A:ACCUM_OFFSET: 2
; COMPUTE_PGM_RSRC3_GFX90A:TG_SPLIT: 0
	.section	.text._ZN9rocsparseL12scale_kernelILj256Ei18rocsparse_bfloat16fEEvT0_NS_24const_host_device_scalarIT2_EEPT1_b,"axG",@progbits,_ZN9rocsparseL12scale_kernelILj256Ei18rocsparse_bfloat16fEEvT0_NS_24const_host_device_scalarIT2_EEPT1_b,comdat
	.globl	_ZN9rocsparseL12scale_kernelILj256Ei18rocsparse_bfloat16fEEvT0_NS_24const_host_device_scalarIT2_EEPT1_b ; -- Begin function _ZN9rocsparseL12scale_kernelILj256Ei18rocsparse_bfloat16fEEvT0_NS_24const_host_device_scalarIT2_EEPT1_b
	.p2align	8
	.type	_ZN9rocsparseL12scale_kernelILj256Ei18rocsparse_bfloat16fEEvT0_NS_24const_host_device_scalarIT2_EEPT1_b,@function
_ZN9rocsparseL12scale_kernelILj256Ei18rocsparse_bfloat16fEEvT0_NS_24const_host_device_scalarIT2_EEPT1_b: ; @_ZN9rocsparseL12scale_kernelILj256Ei18rocsparse_bfloat16fEEvT0_NS_24const_host_device_scalarIT2_EEPT1_b
; %bb.0:
	s_load_dword s3, s[0:1], 0x18
	s_load_dwordx2 s[4:5], s[0:1], 0x8
	s_waitcnt lgkmcnt(0)
	s_bitcmp1_b32 s3, 0
	s_cselect_b64 s[6:7], -1, 0
	s_and_b64 vcc, exec, s[6:7]
	s_cbranch_vccnz .LBB48_2
; %bb.1:
	s_load_dword s4, s[4:5], 0x0
.LBB48_2:
	s_nop 0
	s_load_dword s3, s[0:1], 0x0
	v_lshl_or_b32 v0, s2, 8, v0
	s_waitcnt lgkmcnt(0)
	v_cmp_neq_f32_e64 s[6:7], s4, 1.0
	v_cmp_gt_i32_e32 vcc, s3, v0
	v_cmp_eq_f32_e64 s[2:3], s4, 0
	s_and_b64 s[2:3], vcc, s[2:3]
	s_and_b64 s[2:3], s[6:7], s[2:3]
	s_and_saveexec_b64 s[4:5], s[2:3]
	s_cbranch_execz .LBB48_4
; %bb.3:
	s_load_dwordx2 s[0:1], s[0:1], 0x10
	v_ashrrev_i32_e32 v1, 31, v0
	v_mov_b32_e32 v2, 0
	s_waitcnt lgkmcnt(0)
	v_lshl_add_u64 v[0:1], v[0:1], 1, s[0:1]
	global_store_short v[0:1], v2, off
.LBB48_4:
	s_endpgm
	.section	.rodata,"a",@progbits
	.p2align	6, 0x0
	.amdhsa_kernel _ZN9rocsparseL12scale_kernelILj256Ei18rocsparse_bfloat16fEEvT0_NS_24const_host_device_scalarIT2_EEPT1_b
		.amdhsa_group_segment_fixed_size 0
		.amdhsa_private_segment_fixed_size 0
		.amdhsa_kernarg_size 28
		.amdhsa_user_sgpr_count 2
		.amdhsa_user_sgpr_dispatch_ptr 0
		.amdhsa_user_sgpr_queue_ptr 0
		.amdhsa_user_sgpr_kernarg_segment_ptr 1
		.amdhsa_user_sgpr_dispatch_id 0
		.amdhsa_user_sgpr_kernarg_preload_length 0
		.amdhsa_user_sgpr_kernarg_preload_offset 0
		.amdhsa_user_sgpr_private_segment_size 0
		.amdhsa_uses_dynamic_stack 0
		.amdhsa_enable_private_segment 0
		.amdhsa_system_sgpr_workgroup_id_x 1
		.amdhsa_system_sgpr_workgroup_id_y 0
		.amdhsa_system_sgpr_workgroup_id_z 0
		.amdhsa_system_sgpr_workgroup_info 0
		.amdhsa_system_vgpr_workitem_id 0
		.amdhsa_next_free_vgpr 3
		.amdhsa_next_free_sgpr 8
		.amdhsa_accum_offset 4
		.amdhsa_reserve_vcc 1
		.amdhsa_float_round_mode_32 0
		.amdhsa_float_round_mode_16_64 0
		.amdhsa_float_denorm_mode_32 3
		.amdhsa_float_denorm_mode_16_64 3
		.amdhsa_dx10_clamp 1
		.amdhsa_ieee_mode 1
		.amdhsa_fp16_overflow 0
		.amdhsa_tg_split 0
		.amdhsa_exception_fp_ieee_invalid_op 0
		.amdhsa_exception_fp_denorm_src 0
		.amdhsa_exception_fp_ieee_div_zero 0
		.amdhsa_exception_fp_ieee_overflow 0
		.amdhsa_exception_fp_ieee_underflow 0
		.amdhsa_exception_fp_ieee_inexact 0
		.amdhsa_exception_int_div_zero 0
	.end_amdhsa_kernel
	.section	.text._ZN9rocsparseL12scale_kernelILj256Ei18rocsparse_bfloat16fEEvT0_NS_24const_host_device_scalarIT2_EEPT1_b,"axG",@progbits,_ZN9rocsparseL12scale_kernelILj256Ei18rocsparse_bfloat16fEEvT0_NS_24const_host_device_scalarIT2_EEPT1_b,comdat
.Lfunc_end48:
	.size	_ZN9rocsparseL12scale_kernelILj256Ei18rocsparse_bfloat16fEEvT0_NS_24const_host_device_scalarIT2_EEPT1_b, .Lfunc_end48-_ZN9rocsparseL12scale_kernelILj256Ei18rocsparse_bfloat16fEEvT0_NS_24const_host_device_scalarIT2_EEPT1_b
                                        ; -- End function
	.set _ZN9rocsparseL12scale_kernelILj256Ei18rocsparse_bfloat16fEEvT0_NS_24const_host_device_scalarIT2_EEPT1_b.num_vgpr, 3
	.set _ZN9rocsparseL12scale_kernelILj256Ei18rocsparse_bfloat16fEEvT0_NS_24const_host_device_scalarIT2_EEPT1_b.num_agpr, 0
	.set _ZN9rocsparseL12scale_kernelILj256Ei18rocsparse_bfloat16fEEvT0_NS_24const_host_device_scalarIT2_EEPT1_b.numbered_sgpr, 8
	.set _ZN9rocsparseL12scale_kernelILj256Ei18rocsparse_bfloat16fEEvT0_NS_24const_host_device_scalarIT2_EEPT1_b.num_named_barrier, 0
	.set _ZN9rocsparseL12scale_kernelILj256Ei18rocsparse_bfloat16fEEvT0_NS_24const_host_device_scalarIT2_EEPT1_b.private_seg_size, 0
	.set _ZN9rocsparseL12scale_kernelILj256Ei18rocsparse_bfloat16fEEvT0_NS_24const_host_device_scalarIT2_EEPT1_b.uses_vcc, 1
	.set _ZN9rocsparseL12scale_kernelILj256Ei18rocsparse_bfloat16fEEvT0_NS_24const_host_device_scalarIT2_EEPT1_b.uses_flat_scratch, 0
	.set _ZN9rocsparseL12scale_kernelILj256Ei18rocsparse_bfloat16fEEvT0_NS_24const_host_device_scalarIT2_EEPT1_b.has_dyn_sized_stack, 0
	.set _ZN9rocsparseL12scale_kernelILj256Ei18rocsparse_bfloat16fEEvT0_NS_24const_host_device_scalarIT2_EEPT1_b.has_recursion, 0
	.set _ZN9rocsparseL12scale_kernelILj256Ei18rocsparse_bfloat16fEEvT0_NS_24const_host_device_scalarIT2_EEPT1_b.has_indirect_call, 0
	.section	.AMDGPU.csdata,"",@progbits
; Kernel info:
; codeLenInByte = 144
; TotalNumSgprs: 14
; NumVgprs: 3
; NumAgprs: 0
; TotalNumVgprs: 3
; ScratchSize: 0
; MemoryBound: 0
; FloatMode: 240
; IeeeMode: 1
; LDSByteSize: 0 bytes/workgroup (compile time only)
; SGPRBlocks: 1
; VGPRBlocks: 0
; NumSGPRsForWavesPerEU: 14
; NumVGPRsForWavesPerEU: 3
; AccumOffset: 4
; Occupancy: 8
; WaveLimiterHint : 0
; COMPUTE_PGM_RSRC2:SCRATCH_EN: 0
; COMPUTE_PGM_RSRC2:USER_SGPR: 2
; COMPUTE_PGM_RSRC2:TRAP_HANDLER: 0
; COMPUTE_PGM_RSRC2:TGID_X_EN: 1
; COMPUTE_PGM_RSRC2:TGID_Y_EN: 0
; COMPUTE_PGM_RSRC2:TGID_Z_EN: 0
; COMPUTE_PGM_RSRC2:TIDIG_COMP_CNT: 0
; COMPUTE_PGM_RSRC3_GFX90A:ACCUM_OFFSET: 0
; COMPUTE_PGM_RSRC3_GFX90A:TG_SPLIT: 0
	.section	.text._ZN9rocsparseL12scale_kernelILj256EiDF16_fEEvT0_NS_24const_host_device_scalarIT2_EEPT1_b,"axG",@progbits,_ZN9rocsparseL12scale_kernelILj256EiDF16_fEEvT0_NS_24const_host_device_scalarIT2_EEPT1_b,comdat
	.globl	_ZN9rocsparseL12scale_kernelILj256EiDF16_fEEvT0_NS_24const_host_device_scalarIT2_EEPT1_b ; -- Begin function _ZN9rocsparseL12scale_kernelILj256EiDF16_fEEvT0_NS_24const_host_device_scalarIT2_EEPT1_b
	.p2align	8
	.type	_ZN9rocsparseL12scale_kernelILj256EiDF16_fEEvT0_NS_24const_host_device_scalarIT2_EEPT1_b,@function
_ZN9rocsparseL12scale_kernelILj256EiDF16_fEEvT0_NS_24const_host_device_scalarIT2_EEPT1_b: ; @_ZN9rocsparseL12scale_kernelILj256EiDF16_fEEvT0_NS_24const_host_device_scalarIT2_EEPT1_b
; %bb.0:
	s_load_dword s3, s[0:1], 0x18
	s_load_dwordx2 s[4:5], s[0:1], 0x8
	s_waitcnt lgkmcnt(0)
	s_bitcmp1_b32 s3, 0
	s_cselect_b64 s[6:7], -1, 0
	s_and_b64 vcc, exec, s[6:7]
	s_cbranch_vccnz .LBB49_2
; %bb.1:
	s_load_dword s4, s[4:5], 0x0
.LBB49_2:
	s_waitcnt lgkmcnt(0)
	v_cmp_eq_f32_e64 s[6:7], s4, 1.0
	s_and_b64 vcc, exec, s[6:7]
	s_cbranch_vccnz .LBB49_8
; %bb.3:
	s_load_dword s3, s[0:1], 0x0
	v_lshl_or_b32 v0, s2, 8, v0
	s_waitcnt lgkmcnt(0)
	v_cmp_gt_i32_e32 vcc, s3, v0
	s_and_saveexec_b64 s[2:3], vcc
	s_cbranch_execz .LBB49_8
; %bb.4:
	s_load_dwordx2 s[0:1], s[0:1], 0x10
	v_cmp_eq_f32_e64 s[2:3], s4, 0
	v_ashrrev_i32_e32 v1, 31, v0
	s_and_b64 vcc, exec, s[2:3]
	s_waitcnt lgkmcnt(0)
	v_lshl_add_u64 v[0:1], v[0:1], 1, s[0:1]
	s_cbranch_vccnz .LBB49_6
; %bb.5:
	global_load_ushort v2, v[0:1], off
	s_waitcnt vmcnt(0)
	v_fma_mixlo_f16 v2, s4, v2, 0 op_sel_hi:[0,1,0]
	s_branch .LBB49_7
.LBB49_6:
	v_mov_b32_e32 v2, 0
.LBB49_7:
	global_store_short v[0:1], v2, off
.LBB49_8:
	s_endpgm
	.section	.rodata,"a",@progbits
	.p2align	6, 0x0
	.amdhsa_kernel _ZN9rocsparseL12scale_kernelILj256EiDF16_fEEvT0_NS_24const_host_device_scalarIT2_EEPT1_b
		.amdhsa_group_segment_fixed_size 0
		.amdhsa_private_segment_fixed_size 0
		.amdhsa_kernarg_size 28
		.amdhsa_user_sgpr_count 2
		.amdhsa_user_sgpr_dispatch_ptr 0
		.amdhsa_user_sgpr_queue_ptr 0
		.amdhsa_user_sgpr_kernarg_segment_ptr 1
		.amdhsa_user_sgpr_dispatch_id 0
		.amdhsa_user_sgpr_kernarg_preload_length 0
		.amdhsa_user_sgpr_kernarg_preload_offset 0
		.amdhsa_user_sgpr_private_segment_size 0
		.amdhsa_uses_dynamic_stack 0
		.amdhsa_enable_private_segment 0
		.amdhsa_system_sgpr_workgroup_id_x 1
		.amdhsa_system_sgpr_workgroup_id_y 0
		.amdhsa_system_sgpr_workgroup_id_z 0
		.amdhsa_system_sgpr_workgroup_info 0
		.amdhsa_system_vgpr_workitem_id 0
		.amdhsa_next_free_vgpr 3
		.amdhsa_next_free_sgpr 8
		.amdhsa_accum_offset 4
		.amdhsa_reserve_vcc 1
		.amdhsa_float_round_mode_32 0
		.amdhsa_float_round_mode_16_64 0
		.amdhsa_float_denorm_mode_32 3
		.amdhsa_float_denorm_mode_16_64 3
		.amdhsa_dx10_clamp 1
		.amdhsa_ieee_mode 1
		.amdhsa_fp16_overflow 0
		.amdhsa_tg_split 0
		.amdhsa_exception_fp_ieee_invalid_op 0
		.amdhsa_exception_fp_denorm_src 0
		.amdhsa_exception_fp_ieee_div_zero 0
		.amdhsa_exception_fp_ieee_overflow 0
		.amdhsa_exception_fp_ieee_underflow 0
		.amdhsa_exception_fp_ieee_inexact 0
		.amdhsa_exception_int_div_zero 0
	.end_amdhsa_kernel
	.section	.text._ZN9rocsparseL12scale_kernelILj256EiDF16_fEEvT0_NS_24const_host_device_scalarIT2_EEPT1_b,"axG",@progbits,_ZN9rocsparseL12scale_kernelILj256EiDF16_fEEvT0_NS_24const_host_device_scalarIT2_EEPT1_b,comdat
.Lfunc_end49:
	.size	_ZN9rocsparseL12scale_kernelILj256EiDF16_fEEvT0_NS_24const_host_device_scalarIT2_EEPT1_b, .Lfunc_end49-_ZN9rocsparseL12scale_kernelILj256EiDF16_fEEvT0_NS_24const_host_device_scalarIT2_EEPT1_b
                                        ; -- End function
	.set _ZN9rocsparseL12scale_kernelILj256EiDF16_fEEvT0_NS_24const_host_device_scalarIT2_EEPT1_b.num_vgpr, 3
	.set _ZN9rocsparseL12scale_kernelILj256EiDF16_fEEvT0_NS_24const_host_device_scalarIT2_EEPT1_b.num_agpr, 0
	.set _ZN9rocsparseL12scale_kernelILj256EiDF16_fEEvT0_NS_24const_host_device_scalarIT2_EEPT1_b.numbered_sgpr, 8
	.set _ZN9rocsparseL12scale_kernelILj256EiDF16_fEEvT0_NS_24const_host_device_scalarIT2_EEPT1_b.num_named_barrier, 0
	.set _ZN9rocsparseL12scale_kernelILj256EiDF16_fEEvT0_NS_24const_host_device_scalarIT2_EEPT1_b.private_seg_size, 0
	.set _ZN9rocsparseL12scale_kernelILj256EiDF16_fEEvT0_NS_24const_host_device_scalarIT2_EEPT1_b.uses_vcc, 1
	.set _ZN9rocsparseL12scale_kernelILj256EiDF16_fEEvT0_NS_24const_host_device_scalarIT2_EEPT1_b.uses_flat_scratch, 0
	.set _ZN9rocsparseL12scale_kernelILj256EiDF16_fEEvT0_NS_24const_host_device_scalarIT2_EEPT1_b.has_dyn_sized_stack, 0
	.set _ZN9rocsparseL12scale_kernelILj256EiDF16_fEEvT0_NS_24const_host_device_scalarIT2_EEPT1_b.has_recursion, 0
	.set _ZN9rocsparseL12scale_kernelILj256EiDF16_fEEvT0_NS_24const_host_device_scalarIT2_EEPT1_b.has_indirect_call, 0
	.section	.AMDGPU.csdata,"",@progbits
; Kernel info:
; codeLenInByte = 176
; TotalNumSgprs: 14
; NumVgprs: 3
; NumAgprs: 0
; TotalNumVgprs: 3
; ScratchSize: 0
; MemoryBound: 0
; FloatMode: 240
; IeeeMode: 1
; LDSByteSize: 0 bytes/workgroup (compile time only)
; SGPRBlocks: 1
; VGPRBlocks: 0
; NumSGPRsForWavesPerEU: 14
; NumVGPRsForWavesPerEU: 3
; AccumOffset: 4
; Occupancy: 8
; WaveLimiterHint : 0
; COMPUTE_PGM_RSRC2:SCRATCH_EN: 0
; COMPUTE_PGM_RSRC2:USER_SGPR: 2
; COMPUTE_PGM_RSRC2:TRAP_HANDLER: 0
; COMPUTE_PGM_RSRC2:TGID_X_EN: 1
; COMPUTE_PGM_RSRC2:TGID_Y_EN: 0
; COMPUTE_PGM_RSRC2:TGID_Z_EN: 0
; COMPUTE_PGM_RSRC2:TIDIG_COMP_CNT: 0
; COMPUTE_PGM_RSRC3_GFX90A:ACCUM_OFFSET: 0
; COMPUTE_PGM_RSRC3_GFX90A:TG_SPLIT: 0
	.section	.text._ZN9rocsparseL12scale_kernelILj256EiiiEEvT0_NS_24const_host_device_scalarIT2_EEPT1_b,"axG",@progbits,_ZN9rocsparseL12scale_kernelILj256EiiiEEvT0_NS_24const_host_device_scalarIT2_EEPT1_b,comdat
	.globl	_ZN9rocsparseL12scale_kernelILj256EiiiEEvT0_NS_24const_host_device_scalarIT2_EEPT1_b ; -- Begin function _ZN9rocsparseL12scale_kernelILj256EiiiEEvT0_NS_24const_host_device_scalarIT2_EEPT1_b
	.p2align	8
	.type	_ZN9rocsparseL12scale_kernelILj256EiiiEEvT0_NS_24const_host_device_scalarIT2_EEPT1_b,@function
_ZN9rocsparseL12scale_kernelILj256EiiiEEvT0_NS_24const_host_device_scalarIT2_EEPT1_b: ; @_ZN9rocsparseL12scale_kernelILj256EiiiEEvT0_NS_24const_host_device_scalarIT2_EEPT1_b
; %bb.0:
	s_load_dword s3, s[0:1], 0x18
	s_load_dwordx2 s[4:5], s[0:1], 0x8
	s_waitcnt lgkmcnt(0)
	s_bitcmp0_b32 s3, 0
	s_cbranch_scc0 .LBB50_2
; %bb.1:
	s_load_dword s3, s[4:5], 0x0
	s_cbranch_execz .LBB50_3
	s_branch .LBB50_4
.LBB50_2:
                                        ; implicit-def: $sgpr3
.LBB50_3:
	s_waitcnt lgkmcnt(0)
	s_mov_b32 s3, s4
.LBB50_4:
	s_waitcnt lgkmcnt(0)
	s_cmp_eq_u32 s3, 1
	s_cbranch_scc1 .LBB50_10
; %bb.5:
	s_load_dword s4, s[0:1], 0x0
	v_lshl_or_b32 v0, s2, 8, v0
	s_waitcnt lgkmcnt(0)
	v_cmp_gt_i32_e32 vcc, s4, v0
	s_and_saveexec_b64 s[4:5], vcc
	s_cbranch_execz .LBB50_10
; %bb.6:
	s_load_dwordx2 s[0:1], s[0:1], 0x10
	v_ashrrev_i32_e32 v1, 31, v0
	s_cmp_eq_u32 s3, 0
	s_waitcnt lgkmcnt(0)
	v_lshl_add_u64 v[0:1], v[0:1], 2, s[0:1]
	s_cbranch_scc1 .LBB50_8
; %bb.7:
	global_load_dword v2, v[0:1], off
	s_waitcnt vmcnt(0)
	v_mul_lo_u32 v2, v2, s3
	s_branch .LBB50_9
.LBB50_8:
	v_mov_b32_e32 v2, 0
.LBB50_9:
	global_store_dword v[0:1], v2, off
.LBB50_10:
	s_endpgm
	.section	.rodata,"a",@progbits
	.p2align	6, 0x0
	.amdhsa_kernel _ZN9rocsparseL12scale_kernelILj256EiiiEEvT0_NS_24const_host_device_scalarIT2_EEPT1_b
		.amdhsa_group_segment_fixed_size 0
		.amdhsa_private_segment_fixed_size 0
		.amdhsa_kernarg_size 28
		.amdhsa_user_sgpr_count 2
		.amdhsa_user_sgpr_dispatch_ptr 0
		.amdhsa_user_sgpr_queue_ptr 0
		.amdhsa_user_sgpr_kernarg_segment_ptr 1
		.amdhsa_user_sgpr_dispatch_id 0
		.amdhsa_user_sgpr_kernarg_preload_length 0
		.amdhsa_user_sgpr_kernarg_preload_offset 0
		.amdhsa_user_sgpr_private_segment_size 0
		.amdhsa_uses_dynamic_stack 0
		.amdhsa_enable_private_segment 0
		.amdhsa_system_sgpr_workgroup_id_x 1
		.amdhsa_system_sgpr_workgroup_id_y 0
		.amdhsa_system_sgpr_workgroup_id_z 0
		.amdhsa_system_sgpr_workgroup_info 0
		.amdhsa_system_vgpr_workitem_id 0
		.amdhsa_next_free_vgpr 3
		.amdhsa_next_free_sgpr 6
		.amdhsa_accum_offset 4
		.amdhsa_reserve_vcc 1
		.amdhsa_float_round_mode_32 0
		.amdhsa_float_round_mode_16_64 0
		.amdhsa_float_denorm_mode_32 3
		.amdhsa_float_denorm_mode_16_64 3
		.amdhsa_dx10_clamp 1
		.amdhsa_ieee_mode 1
		.amdhsa_fp16_overflow 0
		.amdhsa_tg_split 0
		.amdhsa_exception_fp_ieee_invalid_op 0
		.amdhsa_exception_fp_denorm_src 0
		.amdhsa_exception_fp_ieee_div_zero 0
		.amdhsa_exception_fp_ieee_overflow 0
		.amdhsa_exception_fp_ieee_underflow 0
		.amdhsa_exception_fp_ieee_inexact 0
		.amdhsa_exception_int_div_zero 0
	.end_amdhsa_kernel
	.section	.text._ZN9rocsparseL12scale_kernelILj256EiiiEEvT0_NS_24const_host_device_scalarIT2_EEPT1_b,"axG",@progbits,_ZN9rocsparseL12scale_kernelILj256EiiiEEvT0_NS_24const_host_device_scalarIT2_EEPT1_b,comdat
.Lfunc_end50:
	.size	_ZN9rocsparseL12scale_kernelILj256EiiiEEvT0_NS_24const_host_device_scalarIT2_EEPT1_b, .Lfunc_end50-_ZN9rocsparseL12scale_kernelILj256EiiiEEvT0_NS_24const_host_device_scalarIT2_EEPT1_b
                                        ; -- End function
	.set _ZN9rocsparseL12scale_kernelILj256EiiiEEvT0_NS_24const_host_device_scalarIT2_EEPT1_b.num_vgpr, 3
	.set _ZN9rocsparseL12scale_kernelILj256EiiiEEvT0_NS_24const_host_device_scalarIT2_EEPT1_b.num_agpr, 0
	.set _ZN9rocsparseL12scale_kernelILj256EiiiEEvT0_NS_24const_host_device_scalarIT2_EEPT1_b.numbered_sgpr, 6
	.set _ZN9rocsparseL12scale_kernelILj256EiiiEEvT0_NS_24const_host_device_scalarIT2_EEPT1_b.num_named_barrier, 0
	.set _ZN9rocsparseL12scale_kernelILj256EiiiEEvT0_NS_24const_host_device_scalarIT2_EEPT1_b.private_seg_size, 0
	.set _ZN9rocsparseL12scale_kernelILj256EiiiEEvT0_NS_24const_host_device_scalarIT2_EEPT1_b.uses_vcc, 1
	.set _ZN9rocsparseL12scale_kernelILj256EiiiEEvT0_NS_24const_host_device_scalarIT2_EEPT1_b.uses_flat_scratch, 0
	.set _ZN9rocsparseL12scale_kernelILj256EiiiEEvT0_NS_24const_host_device_scalarIT2_EEPT1_b.has_dyn_sized_stack, 0
	.set _ZN9rocsparseL12scale_kernelILj256EiiiEEvT0_NS_24const_host_device_scalarIT2_EEPT1_b.has_recursion, 0
	.set _ZN9rocsparseL12scale_kernelILj256EiiiEEvT0_NS_24const_host_device_scalarIT2_EEPT1_b.has_indirect_call, 0
	.section	.AMDGPU.csdata,"",@progbits
; Kernel info:
; codeLenInByte = 168
; TotalNumSgprs: 12
; NumVgprs: 3
; NumAgprs: 0
; TotalNumVgprs: 3
; ScratchSize: 0
; MemoryBound: 0
; FloatMode: 240
; IeeeMode: 1
; LDSByteSize: 0 bytes/workgroup (compile time only)
; SGPRBlocks: 1
; VGPRBlocks: 0
; NumSGPRsForWavesPerEU: 12
; NumVGPRsForWavesPerEU: 3
; AccumOffset: 4
; Occupancy: 8
; WaveLimiterHint : 0
; COMPUTE_PGM_RSRC2:SCRATCH_EN: 0
; COMPUTE_PGM_RSRC2:USER_SGPR: 2
; COMPUTE_PGM_RSRC2:TRAP_HANDLER: 0
; COMPUTE_PGM_RSRC2:TGID_X_EN: 1
; COMPUTE_PGM_RSRC2:TGID_Y_EN: 0
; COMPUTE_PGM_RSRC2:TGID_Z_EN: 0
; COMPUTE_PGM_RSRC2:TIDIG_COMP_CNT: 0
; COMPUTE_PGM_RSRC3_GFX90A:ACCUM_OFFSET: 0
; COMPUTE_PGM_RSRC3_GFX90A:TG_SPLIT: 0
	.section	.text._ZN9rocsparseL12scale_kernelILj256EiffEEvT0_NS_24const_host_device_scalarIT2_EEPT1_b,"axG",@progbits,_ZN9rocsparseL12scale_kernelILj256EiffEEvT0_NS_24const_host_device_scalarIT2_EEPT1_b,comdat
	.globl	_ZN9rocsparseL12scale_kernelILj256EiffEEvT0_NS_24const_host_device_scalarIT2_EEPT1_b ; -- Begin function _ZN9rocsparseL12scale_kernelILj256EiffEEvT0_NS_24const_host_device_scalarIT2_EEPT1_b
	.p2align	8
	.type	_ZN9rocsparseL12scale_kernelILj256EiffEEvT0_NS_24const_host_device_scalarIT2_EEPT1_b,@function
_ZN9rocsparseL12scale_kernelILj256EiffEEvT0_NS_24const_host_device_scalarIT2_EEPT1_b: ; @_ZN9rocsparseL12scale_kernelILj256EiffEEvT0_NS_24const_host_device_scalarIT2_EEPT1_b
; %bb.0:
	s_load_dword s3, s[0:1], 0x18
	s_load_dwordx2 s[4:5], s[0:1], 0x8
	s_waitcnt lgkmcnt(0)
	s_bitcmp1_b32 s3, 0
	s_cselect_b64 s[6:7], -1, 0
	s_and_b64 vcc, exec, s[6:7]
	s_cbranch_vccnz .LBB51_2
; %bb.1:
	s_load_dword s4, s[4:5], 0x0
.LBB51_2:
	s_waitcnt lgkmcnt(0)
	v_cmp_eq_f32_e64 s[6:7], s4, 1.0
	s_and_b64 vcc, exec, s[6:7]
	s_cbranch_vccnz .LBB51_7
; %bb.3:
	s_load_dword s3, s[0:1], 0x0
	v_lshl_or_b32 v0, s2, 8, v0
	s_waitcnt lgkmcnt(0)
	v_cmp_gt_i32_e32 vcc, s3, v0
	s_and_saveexec_b64 s[2:3], vcc
	s_cbranch_execz .LBB51_7
; %bb.4:
	s_load_dwordx2 s[0:1], s[0:1], 0x10
	v_cmp_eq_f32_e64 s[2:3], s4, 0
	v_ashrrev_i32_e32 v1, 31, v0
	v_mov_b32_e32 v2, 0
	s_and_b64 vcc, exec, s[2:3]
	s_waitcnt lgkmcnt(0)
	v_lshl_add_u64 v[0:1], v[0:1], 2, s[0:1]
	s_cbranch_vccnz .LBB51_6
; %bb.5:
	global_load_dword v2, v[0:1], off
	s_waitcnt vmcnt(0)
	v_mul_f32_e32 v2, s4, v2
.LBB51_6:
	global_store_dword v[0:1], v2, off
.LBB51_7:
	s_endpgm
	.section	.rodata,"a",@progbits
	.p2align	6, 0x0
	.amdhsa_kernel _ZN9rocsparseL12scale_kernelILj256EiffEEvT0_NS_24const_host_device_scalarIT2_EEPT1_b
		.amdhsa_group_segment_fixed_size 0
		.amdhsa_private_segment_fixed_size 0
		.amdhsa_kernarg_size 28
		.amdhsa_user_sgpr_count 2
		.amdhsa_user_sgpr_dispatch_ptr 0
		.amdhsa_user_sgpr_queue_ptr 0
		.amdhsa_user_sgpr_kernarg_segment_ptr 1
		.amdhsa_user_sgpr_dispatch_id 0
		.amdhsa_user_sgpr_kernarg_preload_length 0
		.amdhsa_user_sgpr_kernarg_preload_offset 0
		.amdhsa_user_sgpr_private_segment_size 0
		.amdhsa_uses_dynamic_stack 0
		.amdhsa_enable_private_segment 0
		.amdhsa_system_sgpr_workgroup_id_x 1
		.amdhsa_system_sgpr_workgroup_id_y 0
		.amdhsa_system_sgpr_workgroup_id_z 0
		.amdhsa_system_sgpr_workgroup_info 0
		.amdhsa_system_vgpr_workitem_id 0
		.amdhsa_next_free_vgpr 3
		.amdhsa_next_free_sgpr 8
		.amdhsa_accum_offset 4
		.amdhsa_reserve_vcc 1
		.amdhsa_float_round_mode_32 0
		.amdhsa_float_round_mode_16_64 0
		.amdhsa_float_denorm_mode_32 3
		.amdhsa_float_denorm_mode_16_64 3
		.amdhsa_dx10_clamp 1
		.amdhsa_ieee_mode 1
		.amdhsa_fp16_overflow 0
		.amdhsa_tg_split 0
		.amdhsa_exception_fp_ieee_invalid_op 0
		.amdhsa_exception_fp_denorm_src 0
		.amdhsa_exception_fp_ieee_div_zero 0
		.amdhsa_exception_fp_ieee_overflow 0
		.amdhsa_exception_fp_ieee_underflow 0
		.amdhsa_exception_fp_ieee_inexact 0
		.amdhsa_exception_int_div_zero 0
	.end_amdhsa_kernel
	.section	.text._ZN9rocsparseL12scale_kernelILj256EiffEEvT0_NS_24const_host_device_scalarIT2_EEPT1_b,"axG",@progbits,_ZN9rocsparseL12scale_kernelILj256EiffEEvT0_NS_24const_host_device_scalarIT2_EEPT1_b,comdat
.Lfunc_end51:
	.size	_ZN9rocsparseL12scale_kernelILj256EiffEEvT0_NS_24const_host_device_scalarIT2_EEPT1_b, .Lfunc_end51-_ZN9rocsparseL12scale_kernelILj256EiffEEvT0_NS_24const_host_device_scalarIT2_EEPT1_b
                                        ; -- End function
	.set _ZN9rocsparseL12scale_kernelILj256EiffEEvT0_NS_24const_host_device_scalarIT2_EEPT1_b.num_vgpr, 3
	.set _ZN9rocsparseL12scale_kernelILj256EiffEEvT0_NS_24const_host_device_scalarIT2_EEPT1_b.num_agpr, 0
	.set _ZN9rocsparseL12scale_kernelILj256EiffEEvT0_NS_24const_host_device_scalarIT2_EEPT1_b.numbered_sgpr, 8
	.set _ZN9rocsparseL12scale_kernelILj256EiffEEvT0_NS_24const_host_device_scalarIT2_EEPT1_b.num_named_barrier, 0
	.set _ZN9rocsparseL12scale_kernelILj256EiffEEvT0_NS_24const_host_device_scalarIT2_EEPT1_b.private_seg_size, 0
	.set _ZN9rocsparseL12scale_kernelILj256EiffEEvT0_NS_24const_host_device_scalarIT2_EEPT1_b.uses_vcc, 1
	.set _ZN9rocsparseL12scale_kernelILj256EiffEEvT0_NS_24const_host_device_scalarIT2_EEPT1_b.uses_flat_scratch, 0
	.set _ZN9rocsparseL12scale_kernelILj256EiffEEvT0_NS_24const_host_device_scalarIT2_EEPT1_b.has_dyn_sized_stack, 0
	.set _ZN9rocsparseL12scale_kernelILj256EiffEEvT0_NS_24const_host_device_scalarIT2_EEPT1_b.has_recursion, 0
	.set _ZN9rocsparseL12scale_kernelILj256EiffEEvT0_NS_24const_host_device_scalarIT2_EEPT1_b.has_indirect_call, 0
	.section	.AMDGPU.csdata,"",@progbits
; Kernel info:
; codeLenInByte = 168
; TotalNumSgprs: 14
; NumVgprs: 3
; NumAgprs: 0
; TotalNumVgprs: 3
; ScratchSize: 0
; MemoryBound: 0
; FloatMode: 240
; IeeeMode: 1
; LDSByteSize: 0 bytes/workgroup (compile time only)
; SGPRBlocks: 1
; VGPRBlocks: 0
; NumSGPRsForWavesPerEU: 14
; NumVGPRsForWavesPerEU: 3
; AccumOffset: 4
; Occupancy: 8
; WaveLimiterHint : 0
; COMPUTE_PGM_RSRC2:SCRATCH_EN: 0
; COMPUTE_PGM_RSRC2:USER_SGPR: 2
; COMPUTE_PGM_RSRC2:TRAP_HANDLER: 0
; COMPUTE_PGM_RSRC2:TGID_X_EN: 1
; COMPUTE_PGM_RSRC2:TGID_Y_EN: 0
; COMPUTE_PGM_RSRC2:TGID_Z_EN: 0
; COMPUTE_PGM_RSRC2:TIDIG_COMP_CNT: 0
; COMPUTE_PGM_RSRC3_GFX90A:ACCUM_OFFSET: 0
; COMPUTE_PGM_RSRC3_GFX90A:TG_SPLIT: 0
	.section	.text._ZN9rocsparseL12scale_kernelILj256EiddEEvT0_NS_24const_host_device_scalarIT2_EEPT1_b,"axG",@progbits,_ZN9rocsparseL12scale_kernelILj256EiddEEvT0_NS_24const_host_device_scalarIT2_EEPT1_b,comdat
	.globl	_ZN9rocsparseL12scale_kernelILj256EiddEEvT0_NS_24const_host_device_scalarIT2_EEPT1_b ; -- Begin function _ZN9rocsparseL12scale_kernelILj256EiddEEvT0_NS_24const_host_device_scalarIT2_EEPT1_b
	.p2align	8
	.type	_ZN9rocsparseL12scale_kernelILj256EiddEEvT0_NS_24const_host_device_scalarIT2_EEPT1_b,@function
_ZN9rocsparseL12scale_kernelILj256EiddEEvT0_NS_24const_host_device_scalarIT2_EEPT1_b: ; @_ZN9rocsparseL12scale_kernelILj256EiddEEvT0_NS_24const_host_device_scalarIT2_EEPT1_b
; %bb.0:
	s_load_dword s3, s[0:1], 0x18
	s_load_dwordx2 s[4:5], s[0:1], 0x8
	s_waitcnt lgkmcnt(0)
	s_bitcmp1_b32 s3, 0
	s_cselect_b64 s[6:7], -1, 0
	s_and_b64 vcc, exec, s[6:7]
	v_mov_b64_e32 v[2:3], s[4:5]
	s_cbranch_vccnz .LBB52_2
; %bb.1:
	v_mov_b64_e32 v[2:3], s[4:5]
	flat_load_dwordx2 v[2:3], v[2:3]
.LBB52_2:
	s_waitcnt vmcnt(0) lgkmcnt(0)
	v_cmp_neq_f64_e32 vcc, 1.0, v[2:3]
	s_and_saveexec_b64 s[4:5], vcc
	s_cbranch_execz .LBB52_7
; %bb.3:
	s_load_dword s3, s[0:1], 0x0
	v_lshl_or_b32 v4, s2, 8, v0
	s_waitcnt lgkmcnt(0)
	v_cmp_gt_i32_e32 vcc, s3, v4
	s_and_b64 exec, exec, vcc
	s_cbranch_execz .LBB52_7
; %bb.4:
	s_load_dwordx2 s[0:1], s[0:1], 0x10
	v_ashrrev_i32_e32 v5, 31, v4
	v_mov_b64_e32 v[0:1], 0
	v_cmp_neq_f64_e32 vcc, 0, v[2:3]
	s_waitcnt lgkmcnt(0)
	v_lshl_add_u64 v[4:5], v[4:5], 3, s[0:1]
	s_and_saveexec_b64 s[0:1], vcc
	s_cbranch_execz .LBB52_6
; %bb.5:
	global_load_dwordx2 v[0:1], v[4:5], off
	s_waitcnt vmcnt(0)
	v_mul_f64 v[0:1], v[2:3], v[0:1]
.LBB52_6:
	s_or_b64 exec, exec, s[0:1]
	global_store_dwordx2 v[4:5], v[0:1], off
.LBB52_7:
	s_endpgm
	.section	.rodata,"a",@progbits
	.p2align	6, 0x0
	.amdhsa_kernel _ZN9rocsparseL12scale_kernelILj256EiddEEvT0_NS_24const_host_device_scalarIT2_EEPT1_b
		.amdhsa_group_segment_fixed_size 0
		.amdhsa_private_segment_fixed_size 0
		.amdhsa_kernarg_size 28
		.amdhsa_user_sgpr_count 2
		.amdhsa_user_sgpr_dispatch_ptr 0
		.amdhsa_user_sgpr_queue_ptr 0
		.amdhsa_user_sgpr_kernarg_segment_ptr 1
		.amdhsa_user_sgpr_dispatch_id 0
		.amdhsa_user_sgpr_kernarg_preload_length 0
		.amdhsa_user_sgpr_kernarg_preload_offset 0
		.amdhsa_user_sgpr_private_segment_size 0
		.amdhsa_uses_dynamic_stack 0
		.amdhsa_enable_private_segment 0
		.amdhsa_system_sgpr_workgroup_id_x 1
		.amdhsa_system_sgpr_workgroup_id_y 0
		.amdhsa_system_sgpr_workgroup_id_z 0
		.amdhsa_system_sgpr_workgroup_info 0
		.amdhsa_system_vgpr_workitem_id 0
		.amdhsa_next_free_vgpr 6
		.amdhsa_next_free_sgpr 8
		.amdhsa_accum_offset 8
		.amdhsa_reserve_vcc 1
		.amdhsa_float_round_mode_32 0
		.amdhsa_float_round_mode_16_64 0
		.amdhsa_float_denorm_mode_32 3
		.amdhsa_float_denorm_mode_16_64 3
		.amdhsa_dx10_clamp 1
		.amdhsa_ieee_mode 1
		.amdhsa_fp16_overflow 0
		.amdhsa_tg_split 0
		.amdhsa_exception_fp_ieee_invalid_op 0
		.amdhsa_exception_fp_denorm_src 0
		.amdhsa_exception_fp_ieee_div_zero 0
		.amdhsa_exception_fp_ieee_overflow 0
		.amdhsa_exception_fp_ieee_underflow 0
		.amdhsa_exception_fp_ieee_inexact 0
		.amdhsa_exception_int_div_zero 0
	.end_amdhsa_kernel
	.section	.text._ZN9rocsparseL12scale_kernelILj256EiddEEvT0_NS_24const_host_device_scalarIT2_EEPT1_b,"axG",@progbits,_ZN9rocsparseL12scale_kernelILj256EiddEEvT0_NS_24const_host_device_scalarIT2_EEPT1_b,comdat
.Lfunc_end52:
	.size	_ZN9rocsparseL12scale_kernelILj256EiddEEvT0_NS_24const_host_device_scalarIT2_EEPT1_b, .Lfunc_end52-_ZN9rocsparseL12scale_kernelILj256EiddEEvT0_NS_24const_host_device_scalarIT2_EEPT1_b
                                        ; -- End function
	.set _ZN9rocsparseL12scale_kernelILj256EiddEEvT0_NS_24const_host_device_scalarIT2_EEPT1_b.num_vgpr, 6
	.set _ZN9rocsparseL12scale_kernelILj256EiddEEvT0_NS_24const_host_device_scalarIT2_EEPT1_b.num_agpr, 0
	.set _ZN9rocsparseL12scale_kernelILj256EiddEEvT0_NS_24const_host_device_scalarIT2_EEPT1_b.numbered_sgpr, 8
	.set _ZN9rocsparseL12scale_kernelILj256EiddEEvT0_NS_24const_host_device_scalarIT2_EEPT1_b.num_named_barrier, 0
	.set _ZN9rocsparseL12scale_kernelILj256EiddEEvT0_NS_24const_host_device_scalarIT2_EEPT1_b.private_seg_size, 0
	.set _ZN9rocsparseL12scale_kernelILj256EiddEEvT0_NS_24const_host_device_scalarIT2_EEPT1_b.uses_vcc, 1
	.set _ZN9rocsparseL12scale_kernelILj256EiddEEvT0_NS_24const_host_device_scalarIT2_EEPT1_b.uses_flat_scratch, 0
	.set _ZN9rocsparseL12scale_kernelILj256EiddEEvT0_NS_24const_host_device_scalarIT2_EEPT1_b.has_dyn_sized_stack, 0
	.set _ZN9rocsparseL12scale_kernelILj256EiddEEvT0_NS_24const_host_device_scalarIT2_EEPT1_b.has_recursion, 0
	.set _ZN9rocsparseL12scale_kernelILj256EiddEEvT0_NS_24const_host_device_scalarIT2_EEPT1_b.has_indirect_call, 0
	.section	.AMDGPU.csdata,"",@progbits
; Kernel info:
; codeLenInByte = 176
; TotalNumSgprs: 14
; NumVgprs: 6
; NumAgprs: 0
; TotalNumVgprs: 6
; ScratchSize: 0
; MemoryBound: 1
; FloatMode: 240
; IeeeMode: 1
; LDSByteSize: 0 bytes/workgroup (compile time only)
; SGPRBlocks: 1
; VGPRBlocks: 0
; NumSGPRsForWavesPerEU: 14
; NumVGPRsForWavesPerEU: 6
; AccumOffset: 8
; Occupancy: 8
; WaveLimiterHint : 0
; COMPUTE_PGM_RSRC2:SCRATCH_EN: 0
; COMPUTE_PGM_RSRC2:USER_SGPR: 2
; COMPUTE_PGM_RSRC2:TRAP_HANDLER: 0
; COMPUTE_PGM_RSRC2:TGID_X_EN: 1
; COMPUTE_PGM_RSRC2:TGID_Y_EN: 0
; COMPUTE_PGM_RSRC2:TGID_Z_EN: 0
; COMPUTE_PGM_RSRC2:TIDIG_COMP_CNT: 0
; COMPUTE_PGM_RSRC3_GFX90A:ACCUM_OFFSET: 1
; COMPUTE_PGM_RSRC3_GFX90A:TG_SPLIT: 0
	.section	.text._ZN9rocsparseL12scale_kernelILj256Ei21rocsparse_complex_numIfES2_EEvT0_NS_24const_host_device_scalarIT2_EEPT1_b,"axG",@progbits,_ZN9rocsparseL12scale_kernelILj256Ei21rocsparse_complex_numIfES2_EEvT0_NS_24const_host_device_scalarIT2_EEPT1_b,comdat
	.globl	_ZN9rocsparseL12scale_kernelILj256Ei21rocsparse_complex_numIfES2_EEvT0_NS_24const_host_device_scalarIT2_EEPT1_b ; -- Begin function _ZN9rocsparseL12scale_kernelILj256Ei21rocsparse_complex_numIfES2_EEvT0_NS_24const_host_device_scalarIT2_EEPT1_b
	.p2align	8
	.type	_ZN9rocsparseL12scale_kernelILj256Ei21rocsparse_complex_numIfES2_EEvT0_NS_24const_host_device_scalarIT2_EEPT1_b,@function
_ZN9rocsparseL12scale_kernelILj256Ei21rocsparse_complex_numIfES2_EEvT0_NS_24const_host_device_scalarIT2_EEPT1_b: ; @_ZN9rocsparseL12scale_kernelILj256Ei21rocsparse_complex_numIfES2_EEvT0_NS_24const_host_device_scalarIT2_EEPT1_b
; %bb.0:
	s_load_dword s3, s[0:1], 0x18
	s_load_dwordx2 s[4:5], s[0:1], 0x8
	s_add_u32 s6, s0, 8
	s_addc_u32 s7, s1, 0
	s_waitcnt lgkmcnt(0)
	s_bitcmp1_b32 s3, 0
	s_cselect_b32 s3, s7, s5
	s_cselect_b32 s4, s6, s4
	v_mov_b32_e32 v2, s4
	v_mov_b32_e32 v3, s3
	flat_load_dwordx2 v[2:3], v[2:3]
	s_waitcnt vmcnt(0) lgkmcnt(0)
	v_cmp_neq_f32_e32 vcc, 1.0, v2
	v_cmp_neq_f32_e64 s[4:5], 0, v3
	s_or_b64 s[4:5], vcc, s[4:5]
	s_and_saveexec_b64 s[6:7], s[4:5]
	s_cbranch_execz .LBB53_6
; %bb.1:
	s_load_dword s3, s[0:1], 0x0
	v_lshl_or_b32 v0, s2, 8, v0
	s_waitcnt lgkmcnt(0)
	v_cmp_gt_i32_e32 vcc, s3, v0
	s_and_b64 exec, exec, vcc
	s_cbranch_execz .LBB53_6
; %bb.2:
	s_load_dwordx2 s[2:3], s[0:1], 0x10
	v_cmp_neq_f32_e32 vcc, 0, v2
	v_cmp_neq_f32_e64 s[0:1], 0, v3
	v_ashrrev_i32_e32 v1, 31, v0
	s_or_b64 s[0:1], vcc, s[0:1]
	s_waitcnt lgkmcnt(0)
	v_lshl_add_u64 v[0:1], v[0:1], 3, s[2:3]
	s_and_saveexec_b64 s[2:3], s[0:1]
	s_xor_b64 s[0:1], exec, s[2:3]
	s_cbranch_execz .LBB53_4
; %bb.3:
	global_load_dwordx2 v[4:5], v[0:1], off
	v_mov_b32_e32 v6, v3
	s_waitcnt vmcnt(0)
	v_xor_b32_e32 v8, 0x80000000, v5
	v_mov_b32_e32 v9, v4
	v_pk_mul_f32 v[6:7], v[6:7], v[8:9] op_sel_hi:[0,1]
	v_pk_fma_f32 v[2:3], v[4:5], v[2:3], v[6:7] op_sel_hi:[1,0,1]
	global_store_dwordx2 v[0:1], v[2:3], off
                                        ; implicit-def: $vgpr0_vgpr1
.LBB53_4:
	s_andn2_saveexec_b64 s[0:1], s[0:1]
	s_cbranch_execz .LBB53_6
; %bb.5:
	v_mov_b32_e32 v2, 0
	v_mov_b32_e32 v3, v2
	global_store_dwordx2 v[0:1], v[2:3], off
.LBB53_6:
	s_endpgm
	.section	.rodata,"a",@progbits
	.p2align	6, 0x0
	.amdhsa_kernel _ZN9rocsparseL12scale_kernelILj256Ei21rocsparse_complex_numIfES2_EEvT0_NS_24const_host_device_scalarIT2_EEPT1_b
		.amdhsa_group_segment_fixed_size 0
		.amdhsa_private_segment_fixed_size 0
		.amdhsa_kernarg_size 28
		.amdhsa_user_sgpr_count 2
		.amdhsa_user_sgpr_dispatch_ptr 0
		.amdhsa_user_sgpr_queue_ptr 0
		.amdhsa_user_sgpr_kernarg_segment_ptr 1
		.amdhsa_user_sgpr_dispatch_id 0
		.amdhsa_user_sgpr_kernarg_preload_length 0
		.amdhsa_user_sgpr_kernarg_preload_offset 0
		.amdhsa_user_sgpr_private_segment_size 0
		.amdhsa_uses_dynamic_stack 0
		.amdhsa_enable_private_segment 0
		.amdhsa_system_sgpr_workgroup_id_x 1
		.amdhsa_system_sgpr_workgroup_id_y 0
		.amdhsa_system_sgpr_workgroup_id_z 0
		.amdhsa_system_sgpr_workgroup_info 0
		.amdhsa_system_vgpr_workitem_id 0
		.amdhsa_next_free_vgpr 10
		.amdhsa_next_free_sgpr 8
		.amdhsa_accum_offset 12
		.amdhsa_reserve_vcc 1
		.amdhsa_float_round_mode_32 0
		.amdhsa_float_round_mode_16_64 0
		.amdhsa_float_denorm_mode_32 3
		.amdhsa_float_denorm_mode_16_64 3
		.amdhsa_dx10_clamp 1
		.amdhsa_ieee_mode 1
		.amdhsa_fp16_overflow 0
		.amdhsa_tg_split 0
		.amdhsa_exception_fp_ieee_invalid_op 0
		.amdhsa_exception_fp_denorm_src 0
		.amdhsa_exception_fp_ieee_div_zero 0
		.amdhsa_exception_fp_ieee_overflow 0
		.amdhsa_exception_fp_ieee_underflow 0
		.amdhsa_exception_fp_ieee_inexact 0
		.amdhsa_exception_int_div_zero 0
	.end_amdhsa_kernel
	.section	.text._ZN9rocsparseL12scale_kernelILj256Ei21rocsparse_complex_numIfES2_EEvT0_NS_24const_host_device_scalarIT2_EEPT1_b,"axG",@progbits,_ZN9rocsparseL12scale_kernelILj256Ei21rocsparse_complex_numIfES2_EEvT0_NS_24const_host_device_scalarIT2_EEPT1_b,comdat
.Lfunc_end53:
	.size	_ZN9rocsparseL12scale_kernelILj256Ei21rocsparse_complex_numIfES2_EEvT0_NS_24const_host_device_scalarIT2_EEPT1_b, .Lfunc_end53-_ZN9rocsparseL12scale_kernelILj256Ei21rocsparse_complex_numIfES2_EEvT0_NS_24const_host_device_scalarIT2_EEPT1_b
                                        ; -- End function
	.set _ZN9rocsparseL12scale_kernelILj256Ei21rocsparse_complex_numIfES2_EEvT0_NS_24const_host_device_scalarIT2_EEPT1_b.num_vgpr, 10
	.set _ZN9rocsparseL12scale_kernelILj256Ei21rocsparse_complex_numIfES2_EEvT0_NS_24const_host_device_scalarIT2_EEPT1_b.num_agpr, 0
	.set _ZN9rocsparseL12scale_kernelILj256Ei21rocsparse_complex_numIfES2_EEvT0_NS_24const_host_device_scalarIT2_EEPT1_b.numbered_sgpr, 8
	.set _ZN9rocsparseL12scale_kernelILj256Ei21rocsparse_complex_numIfES2_EEvT0_NS_24const_host_device_scalarIT2_EEPT1_b.num_named_barrier, 0
	.set _ZN9rocsparseL12scale_kernelILj256Ei21rocsparse_complex_numIfES2_EEvT0_NS_24const_host_device_scalarIT2_EEPT1_b.private_seg_size, 0
	.set _ZN9rocsparseL12scale_kernelILj256Ei21rocsparse_complex_numIfES2_EEvT0_NS_24const_host_device_scalarIT2_EEPT1_b.uses_vcc, 1
	.set _ZN9rocsparseL12scale_kernelILj256Ei21rocsparse_complex_numIfES2_EEvT0_NS_24const_host_device_scalarIT2_EEPT1_b.uses_flat_scratch, 0
	.set _ZN9rocsparseL12scale_kernelILj256Ei21rocsparse_complex_numIfES2_EEvT0_NS_24const_host_device_scalarIT2_EEPT1_b.has_dyn_sized_stack, 0
	.set _ZN9rocsparseL12scale_kernelILj256Ei21rocsparse_complex_numIfES2_EEvT0_NS_24const_host_device_scalarIT2_EEPT1_b.has_recursion, 0
	.set _ZN9rocsparseL12scale_kernelILj256Ei21rocsparse_complex_numIfES2_EEvT0_NS_24const_host_device_scalarIT2_EEPT1_b.has_indirect_call, 0
	.section	.AMDGPU.csdata,"",@progbits
; Kernel info:
; codeLenInByte = 248
; TotalNumSgprs: 14
; NumVgprs: 10
; NumAgprs: 0
; TotalNumVgprs: 10
; ScratchSize: 0
; MemoryBound: 0
; FloatMode: 240
; IeeeMode: 1
; LDSByteSize: 0 bytes/workgroup (compile time only)
; SGPRBlocks: 1
; VGPRBlocks: 1
; NumSGPRsForWavesPerEU: 14
; NumVGPRsForWavesPerEU: 10
; AccumOffset: 12
; Occupancy: 8
; WaveLimiterHint : 0
; COMPUTE_PGM_RSRC2:SCRATCH_EN: 0
; COMPUTE_PGM_RSRC2:USER_SGPR: 2
; COMPUTE_PGM_RSRC2:TRAP_HANDLER: 0
; COMPUTE_PGM_RSRC2:TGID_X_EN: 1
; COMPUTE_PGM_RSRC2:TGID_Y_EN: 0
; COMPUTE_PGM_RSRC2:TGID_Z_EN: 0
; COMPUTE_PGM_RSRC2:TIDIG_COMP_CNT: 0
; COMPUTE_PGM_RSRC3_GFX90A:ACCUM_OFFSET: 2
; COMPUTE_PGM_RSRC3_GFX90A:TG_SPLIT: 0
	.section	.text._ZN9rocsparseL12scale_kernelILj256Ei21rocsparse_complex_numIdES2_EEvT0_NS_24const_host_device_scalarIT2_EEPT1_b,"axG",@progbits,_ZN9rocsparseL12scale_kernelILj256Ei21rocsparse_complex_numIdES2_EEvT0_NS_24const_host_device_scalarIT2_EEPT1_b,comdat
	.globl	_ZN9rocsparseL12scale_kernelILj256Ei21rocsparse_complex_numIdES2_EEvT0_NS_24const_host_device_scalarIT2_EEPT1_b ; -- Begin function _ZN9rocsparseL12scale_kernelILj256Ei21rocsparse_complex_numIdES2_EEvT0_NS_24const_host_device_scalarIT2_EEPT1_b
	.p2align	8
	.type	_ZN9rocsparseL12scale_kernelILj256Ei21rocsparse_complex_numIdES2_EEvT0_NS_24const_host_device_scalarIT2_EEPT1_b,@function
_ZN9rocsparseL12scale_kernelILj256Ei21rocsparse_complex_numIdES2_EEvT0_NS_24const_host_device_scalarIT2_EEPT1_b: ; @_ZN9rocsparseL12scale_kernelILj256Ei21rocsparse_complex_numIdES2_EEvT0_NS_24const_host_device_scalarIT2_EEPT1_b
; %bb.0:
	s_load_dword s3, s[0:1], 0x20
	s_load_dwordx2 s[4:5], s[0:1], 0x8
	s_add_u32 s6, s0, 8
	s_addc_u32 s7, s1, 0
	s_waitcnt lgkmcnt(0)
	s_bitcmp1_b32 s3, 0
	s_cselect_b32 s3, s7, s5
	s_cselect_b32 s4, s6, s4
	v_mov_b32_e32 v2, s4
	v_mov_b32_e32 v3, s3
	flat_load_dwordx4 v[2:5], v[2:3]
	s_waitcnt vmcnt(0) lgkmcnt(0)
	v_cmp_neq_f64_e32 vcc, 1.0, v[2:3]
	v_cmp_neq_f64_e64 s[4:5], 0, v[4:5]
	s_or_b64 s[4:5], vcc, s[4:5]
	s_and_saveexec_b64 s[6:7], s[4:5]
	s_cbranch_execz .LBB54_5
; %bb.1:
	s_load_dword s3, s[0:1], 0x0
	v_lshl_or_b32 v0, s2, 8, v0
	s_waitcnt lgkmcnt(0)
	v_cmp_gt_i32_e32 vcc, s3, v0
	s_and_b64 exec, exec, vcc
	s_cbranch_execz .LBB54_5
; %bb.2:
	s_load_dwordx2 s[2:3], s[0:1], 0x18
	v_cmp_neq_f64_e32 vcc, 0, v[2:3]
	v_cmp_neq_f64_e64 s[0:1], 0, v[4:5]
	v_ashrrev_i32_e32 v1, 31, v0
	v_mov_b64_e32 v[6:7], 0
	s_or_b64 s[4:5], vcc, s[0:1]
	s_waitcnt lgkmcnt(0)
	v_lshl_add_u64 v[0:1], v[0:1], 4, s[2:3]
	v_mov_b64_e32 v[8:9], 0
	s_and_saveexec_b64 s[0:1], s[4:5]
	s_cbranch_execz .LBB54_4
; %bb.3:
	global_load_dwordx4 v[10:13], v[0:1], off
	s_waitcnt vmcnt(0)
	v_mul_f64 v[6:7], v[4:5], -v[12:13]
	v_mul_f64 v[8:9], v[4:5], v[10:11]
	v_fmac_f64_e32 v[6:7], v[10:11], v[2:3]
	v_fmac_f64_e32 v[8:9], v[12:13], v[2:3]
.LBB54_4:
	s_or_b64 exec, exec, s[0:1]
	global_store_dwordx4 v[0:1], v[6:9], off
.LBB54_5:
	s_endpgm
	.section	.rodata,"a",@progbits
	.p2align	6, 0x0
	.amdhsa_kernel _ZN9rocsparseL12scale_kernelILj256Ei21rocsparse_complex_numIdES2_EEvT0_NS_24const_host_device_scalarIT2_EEPT1_b
		.amdhsa_group_segment_fixed_size 0
		.amdhsa_private_segment_fixed_size 0
		.amdhsa_kernarg_size 36
		.amdhsa_user_sgpr_count 2
		.amdhsa_user_sgpr_dispatch_ptr 0
		.amdhsa_user_sgpr_queue_ptr 0
		.amdhsa_user_sgpr_kernarg_segment_ptr 1
		.amdhsa_user_sgpr_dispatch_id 0
		.amdhsa_user_sgpr_kernarg_preload_length 0
		.amdhsa_user_sgpr_kernarg_preload_offset 0
		.amdhsa_user_sgpr_private_segment_size 0
		.amdhsa_uses_dynamic_stack 0
		.amdhsa_enable_private_segment 0
		.amdhsa_system_sgpr_workgroup_id_x 1
		.amdhsa_system_sgpr_workgroup_id_y 0
		.amdhsa_system_sgpr_workgroup_id_z 0
		.amdhsa_system_sgpr_workgroup_info 0
		.amdhsa_system_vgpr_workitem_id 0
		.amdhsa_next_free_vgpr 14
		.amdhsa_next_free_sgpr 8
		.amdhsa_accum_offset 16
		.amdhsa_reserve_vcc 1
		.amdhsa_float_round_mode_32 0
		.amdhsa_float_round_mode_16_64 0
		.amdhsa_float_denorm_mode_32 3
		.amdhsa_float_denorm_mode_16_64 3
		.amdhsa_dx10_clamp 1
		.amdhsa_ieee_mode 1
		.amdhsa_fp16_overflow 0
		.amdhsa_tg_split 0
		.amdhsa_exception_fp_ieee_invalid_op 0
		.amdhsa_exception_fp_denorm_src 0
		.amdhsa_exception_fp_ieee_div_zero 0
		.amdhsa_exception_fp_ieee_overflow 0
		.amdhsa_exception_fp_ieee_underflow 0
		.amdhsa_exception_fp_ieee_inexact 0
		.amdhsa_exception_int_div_zero 0
	.end_amdhsa_kernel
	.section	.text._ZN9rocsparseL12scale_kernelILj256Ei21rocsparse_complex_numIdES2_EEvT0_NS_24const_host_device_scalarIT2_EEPT1_b,"axG",@progbits,_ZN9rocsparseL12scale_kernelILj256Ei21rocsparse_complex_numIdES2_EEvT0_NS_24const_host_device_scalarIT2_EEPT1_b,comdat
.Lfunc_end54:
	.size	_ZN9rocsparseL12scale_kernelILj256Ei21rocsparse_complex_numIdES2_EEvT0_NS_24const_host_device_scalarIT2_EEPT1_b, .Lfunc_end54-_ZN9rocsparseL12scale_kernelILj256Ei21rocsparse_complex_numIdES2_EEvT0_NS_24const_host_device_scalarIT2_EEPT1_b
                                        ; -- End function
	.set _ZN9rocsparseL12scale_kernelILj256Ei21rocsparse_complex_numIdES2_EEvT0_NS_24const_host_device_scalarIT2_EEPT1_b.num_vgpr, 14
	.set _ZN9rocsparseL12scale_kernelILj256Ei21rocsparse_complex_numIdES2_EEvT0_NS_24const_host_device_scalarIT2_EEPT1_b.num_agpr, 0
	.set _ZN9rocsparseL12scale_kernelILj256Ei21rocsparse_complex_numIdES2_EEvT0_NS_24const_host_device_scalarIT2_EEPT1_b.numbered_sgpr, 8
	.set _ZN9rocsparseL12scale_kernelILj256Ei21rocsparse_complex_numIdES2_EEvT0_NS_24const_host_device_scalarIT2_EEPT1_b.num_named_barrier, 0
	.set _ZN9rocsparseL12scale_kernelILj256Ei21rocsparse_complex_numIdES2_EEvT0_NS_24const_host_device_scalarIT2_EEPT1_b.private_seg_size, 0
	.set _ZN9rocsparseL12scale_kernelILj256Ei21rocsparse_complex_numIdES2_EEvT0_NS_24const_host_device_scalarIT2_EEPT1_b.uses_vcc, 1
	.set _ZN9rocsparseL12scale_kernelILj256Ei21rocsparse_complex_numIdES2_EEvT0_NS_24const_host_device_scalarIT2_EEPT1_b.uses_flat_scratch, 0
	.set _ZN9rocsparseL12scale_kernelILj256Ei21rocsparse_complex_numIdES2_EEvT0_NS_24const_host_device_scalarIT2_EEPT1_b.has_dyn_sized_stack, 0
	.set _ZN9rocsparseL12scale_kernelILj256Ei21rocsparse_complex_numIdES2_EEvT0_NS_24const_host_device_scalarIT2_EEPT1_b.has_recursion, 0
	.set _ZN9rocsparseL12scale_kernelILj256Ei21rocsparse_complex_numIdES2_EEvT0_NS_24const_host_device_scalarIT2_EEPT1_b.has_indirect_call, 0
	.section	.AMDGPU.csdata,"",@progbits
; Kernel info:
; codeLenInByte = 224
; TotalNumSgprs: 14
; NumVgprs: 14
; NumAgprs: 0
; TotalNumVgprs: 14
; ScratchSize: 0
; MemoryBound: 0
; FloatMode: 240
; IeeeMode: 1
; LDSByteSize: 0 bytes/workgroup (compile time only)
; SGPRBlocks: 1
; VGPRBlocks: 1
; NumSGPRsForWavesPerEU: 14
; NumVGPRsForWavesPerEU: 14
; AccumOffset: 16
; Occupancy: 8
; WaveLimiterHint : 0
; COMPUTE_PGM_RSRC2:SCRATCH_EN: 0
; COMPUTE_PGM_RSRC2:USER_SGPR: 2
; COMPUTE_PGM_RSRC2:TRAP_HANDLER: 0
; COMPUTE_PGM_RSRC2:TGID_X_EN: 1
; COMPUTE_PGM_RSRC2:TGID_Y_EN: 0
; COMPUTE_PGM_RSRC2:TGID_Z_EN: 0
; COMPUTE_PGM_RSRC2:TIDIG_COMP_CNT: 0
; COMPUTE_PGM_RSRC3_GFX90A:ACCUM_OFFSET: 3
; COMPUTE_PGM_RSRC3_GFX90A:TG_SPLIT: 0
	.section	.text._ZN9rocsparseL12scale_kernelILj256El18rocsparse_bfloat16fEEvT0_NS_24const_host_device_scalarIT2_EEPT1_b,"axG",@progbits,_ZN9rocsparseL12scale_kernelILj256El18rocsparse_bfloat16fEEvT0_NS_24const_host_device_scalarIT2_EEPT1_b,comdat
	.globl	_ZN9rocsparseL12scale_kernelILj256El18rocsparse_bfloat16fEEvT0_NS_24const_host_device_scalarIT2_EEPT1_b ; -- Begin function _ZN9rocsparseL12scale_kernelILj256El18rocsparse_bfloat16fEEvT0_NS_24const_host_device_scalarIT2_EEPT1_b
	.p2align	8
	.type	_ZN9rocsparseL12scale_kernelILj256El18rocsparse_bfloat16fEEvT0_NS_24const_host_device_scalarIT2_EEPT1_b,@function
_ZN9rocsparseL12scale_kernelILj256El18rocsparse_bfloat16fEEvT0_NS_24const_host_device_scalarIT2_EEPT1_b: ; @_ZN9rocsparseL12scale_kernelILj256El18rocsparse_bfloat16fEEvT0_NS_24const_host_device_scalarIT2_EEPT1_b
; %bb.0:
	s_load_dword s3, s[0:1], 0x18
	s_load_dwordx4 s[4:7], s[0:1], 0x0
	s_waitcnt lgkmcnt(0)
	s_bitcmp1_b32 s3, 0
	s_cselect_b64 s[8:9], -1, 0
	s_and_b64 vcc, exec, s[8:9]
	s_cbranch_vccnz .LBB55_2
; %bb.1:
	s_load_dword s6, s[6:7], 0x0
.LBB55_2:
	v_lshl_or_b32 v0, s2, 8, v0
	v_mov_b32_e32 v1, 0
	v_cmp_gt_i64_e32 vcc, s[4:5], v[0:1]
	s_waitcnt lgkmcnt(0)
	v_cmp_eq_f32_e64 s[2:3], s6, 0
	v_cmp_neq_f32_e64 s[8:9], s6, 1.0
	s_and_b64 s[2:3], vcc, s[2:3]
	s_and_b64 s[2:3], s[8:9], s[2:3]
	s_and_saveexec_b64 s[4:5], s[2:3]
	s_cbranch_execz .LBB55_4
; %bb.3:
	s_load_dwordx2 s[0:1], s[0:1], 0x10
	s_waitcnt lgkmcnt(0)
	v_lshl_add_u64 v[2:3], v[0:1], 1, s[0:1]
	global_store_short v[2:3], v1, off
.LBB55_4:
	s_endpgm
	.section	.rodata,"a",@progbits
	.p2align	6, 0x0
	.amdhsa_kernel _ZN9rocsparseL12scale_kernelILj256El18rocsparse_bfloat16fEEvT0_NS_24const_host_device_scalarIT2_EEPT1_b
		.amdhsa_group_segment_fixed_size 0
		.amdhsa_private_segment_fixed_size 0
		.amdhsa_kernarg_size 28
		.amdhsa_user_sgpr_count 2
		.amdhsa_user_sgpr_dispatch_ptr 0
		.amdhsa_user_sgpr_queue_ptr 0
		.amdhsa_user_sgpr_kernarg_segment_ptr 1
		.amdhsa_user_sgpr_dispatch_id 0
		.amdhsa_user_sgpr_kernarg_preload_length 0
		.amdhsa_user_sgpr_kernarg_preload_offset 0
		.amdhsa_user_sgpr_private_segment_size 0
		.amdhsa_uses_dynamic_stack 0
		.amdhsa_enable_private_segment 0
		.amdhsa_system_sgpr_workgroup_id_x 1
		.amdhsa_system_sgpr_workgroup_id_y 0
		.amdhsa_system_sgpr_workgroup_id_z 0
		.amdhsa_system_sgpr_workgroup_info 0
		.amdhsa_system_vgpr_workitem_id 0
		.amdhsa_next_free_vgpr 4
		.amdhsa_next_free_sgpr 10
		.amdhsa_accum_offset 4
		.amdhsa_reserve_vcc 1
		.amdhsa_float_round_mode_32 0
		.amdhsa_float_round_mode_16_64 0
		.amdhsa_float_denorm_mode_32 3
		.amdhsa_float_denorm_mode_16_64 3
		.amdhsa_dx10_clamp 1
		.amdhsa_ieee_mode 1
		.amdhsa_fp16_overflow 0
		.amdhsa_tg_split 0
		.amdhsa_exception_fp_ieee_invalid_op 0
		.amdhsa_exception_fp_denorm_src 0
		.amdhsa_exception_fp_ieee_div_zero 0
		.amdhsa_exception_fp_ieee_overflow 0
		.amdhsa_exception_fp_ieee_underflow 0
		.amdhsa_exception_fp_ieee_inexact 0
		.amdhsa_exception_int_div_zero 0
	.end_amdhsa_kernel
	.section	.text._ZN9rocsparseL12scale_kernelILj256El18rocsparse_bfloat16fEEvT0_NS_24const_host_device_scalarIT2_EEPT1_b,"axG",@progbits,_ZN9rocsparseL12scale_kernelILj256El18rocsparse_bfloat16fEEvT0_NS_24const_host_device_scalarIT2_EEPT1_b,comdat
.Lfunc_end55:
	.size	_ZN9rocsparseL12scale_kernelILj256El18rocsparse_bfloat16fEEvT0_NS_24const_host_device_scalarIT2_EEPT1_b, .Lfunc_end55-_ZN9rocsparseL12scale_kernelILj256El18rocsparse_bfloat16fEEvT0_NS_24const_host_device_scalarIT2_EEPT1_b
                                        ; -- End function
	.set _ZN9rocsparseL12scale_kernelILj256El18rocsparse_bfloat16fEEvT0_NS_24const_host_device_scalarIT2_EEPT1_b.num_vgpr, 4
	.set _ZN9rocsparseL12scale_kernelILj256El18rocsparse_bfloat16fEEvT0_NS_24const_host_device_scalarIT2_EEPT1_b.num_agpr, 0
	.set _ZN9rocsparseL12scale_kernelILj256El18rocsparse_bfloat16fEEvT0_NS_24const_host_device_scalarIT2_EEPT1_b.numbered_sgpr, 10
	.set _ZN9rocsparseL12scale_kernelILj256El18rocsparse_bfloat16fEEvT0_NS_24const_host_device_scalarIT2_EEPT1_b.num_named_barrier, 0
	.set _ZN9rocsparseL12scale_kernelILj256El18rocsparse_bfloat16fEEvT0_NS_24const_host_device_scalarIT2_EEPT1_b.private_seg_size, 0
	.set _ZN9rocsparseL12scale_kernelILj256El18rocsparse_bfloat16fEEvT0_NS_24const_host_device_scalarIT2_EEPT1_b.uses_vcc, 1
	.set _ZN9rocsparseL12scale_kernelILj256El18rocsparse_bfloat16fEEvT0_NS_24const_host_device_scalarIT2_EEPT1_b.uses_flat_scratch, 0
	.set _ZN9rocsparseL12scale_kernelILj256El18rocsparse_bfloat16fEEvT0_NS_24const_host_device_scalarIT2_EEPT1_b.has_dyn_sized_stack, 0
	.set _ZN9rocsparseL12scale_kernelILj256El18rocsparse_bfloat16fEEvT0_NS_24const_host_device_scalarIT2_EEPT1_b.has_recursion, 0
	.set _ZN9rocsparseL12scale_kernelILj256El18rocsparse_bfloat16fEEvT0_NS_24const_host_device_scalarIT2_EEPT1_b.has_indirect_call, 0
	.section	.AMDGPU.csdata,"",@progbits
; Kernel info:
; codeLenInByte = 128
; TotalNumSgprs: 16
; NumVgprs: 4
; NumAgprs: 0
; TotalNumVgprs: 4
; ScratchSize: 0
; MemoryBound: 0
; FloatMode: 240
; IeeeMode: 1
; LDSByteSize: 0 bytes/workgroup (compile time only)
; SGPRBlocks: 1
; VGPRBlocks: 0
; NumSGPRsForWavesPerEU: 16
; NumVGPRsForWavesPerEU: 4
; AccumOffset: 4
; Occupancy: 8
; WaveLimiterHint : 0
; COMPUTE_PGM_RSRC2:SCRATCH_EN: 0
; COMPUTE_PGM_RSRC2:USER_SGPR: 2
; COMPUTE_PGM_RSRC2:TRAP_HANDLER: 0
; COMPUTE_PGM_RSRC2:TGID_X_EN: 1
; COMPUTE_PGM_RSRC2:TGID_Y_EN: 0
; COMPUTE_PGM_RSRC2:TGID_Z_EN: 0
; COMPUTE_PGM_RSRC2:TIDIG_COMP_CNT: 0
; COMPUTE_PGM_RSRC3_GFX90A:ACCUM_OFFSET: 0
; COMPUTE_PGM_RSRC3_GFX90A:TG_SPLIT: 0
	.section	.text._ZN9rocsparseL12scale_kernelILj256ElDF16_fEEvT0_NS_24const_host_device_scalarIT2_EEPT1_b,"axG",@progbits,_ZN9rocsparseL12scale_kernelILj256ElDF16_fEEvT0_NS_24const_host_device_scalarIT2_EEPT1_b,comdat
	.globl	_ZN9rocsparseL12scale_kernelILj256ElDF16_fEEvT0_NS_24const_host_device_scalarIT2_EEPT1_b ; -- Begin function _ZN9rocsparseL12scale_kernelILj256ElDF16_fEEvT0_NS_24const_host_device_scalarIT2_EEPT1_b
	.p2align	8
	.type	_ZN9rocsparseL12scale_kernelILj256ElDF16_fEEvT0_NS_24const_host_device_scalarIT2_EEPT1_b,@function
_ZN9rocsparseL12scale_kernelILj256ElDF16_fEEvT0_NS_24const_host_device_scalarIT2_EEPT1_b: ; @_ZN9rocsparseL12scale_kernelILj256ElDF16_fEEvT0_NS_24const_host_device_scalarIT2_EEPT1_b
; %bb.0:
	s_load_dword s3, s[0:1], 0x18
	s_load_dwordx4 s[4:7], s[0:1], 0x0
	s_waitcnt lgkmcnt(0)
	s_bitcmp1_b32 s3, 0
	s_cselect_b64 s[8:9], -1, 0
	s_and_b64 vcc, exec, s[8:9]
	s_cbranch_vccnz .LBB56_2
; %bb.1:
	s_load_dword s6, s[6:7], 0x0
.LBB56_2:
	s_waitcnt lgkmcnt(0)
	v_cmp_eq_f32_e64 s[8:9], s6, 1.0
	s_and_b64 vcc, exec, s[8:9]
	s_cbranch_vccnz .LBB56_7
; %bb.3:
	v_lshl_or_b32 v0, s2, 8, v0
	v_mov_b32_e32 v1, 0
	v_cmp_gt_i64_e32 vcc, s[4:5], v[0:1]
	s_and_saveexec_b64 s[2:3], vcc
	s_cbranch_execz .LBB56_7
; %bb.4:
	s_load_dwordx2 s[0:1], s[0:1], 0x10
	v_cmp_eq_f32_e64 s[2:3], s6, 0
	s_and_b64 vcc, exec, s[2:3]
	s_waitcnt lgkmcnt(0)
	v_lshl_add_u64 v[2:3], v[0:1], 1, s[0:1]
	s_cbranch_vccnz .LBB56_6
; %bb.5:
	global_load_ushort v0, v[2:3], off
	s_waitcnt vmcnt(0)
	v_fma_mixlo_f16 v1, s6, v0, 0 op_sel_hi:[0,1,0]
.LBB56_6:
	global_store_short v[2:3], v1, off
.LBB56_7:
	s_endpgm
	.section	.rodata,"a",@progbits
	.p2align	6, 0x0
	.amdhsa_kernel _ZN9rocsparseL12scale_kernelILj256ElDF16_fEEvT0_NS_24const_host_device_scalarIT2_EEPT1_b
		.amdhsa_group_segment_fixed_size 0
		.amdhsa_private_segment_fixed_size 0
		.amdhsa_kernarg_size 28
		.amdhsa_user_sgpr_count 2
		.amdhsa_user_sgpr_dispatch_ptr 0
		.amdhsa_user_sgpr_queue_ptr 0
		.amdhsa_user_sgpr_kernarg_segment_ptr 1
		.amdhsa_user_sgpr_dispatch_id 0
		.amdhsa_user_sgpr_kernarg_preload_length 0
		.amdhsa_user_sgpr_kernarg_preload_offset 0
		.amdhsa_user_sgpr_private_segment_size 0
		.amdhsa_uses_dynamic_stack 0
		.amdhsa_enable_private_segment 0
		.amdhsa_system_sgpr_workgroup_id_x 1
		.amdhsa_system_sgpr_workgroup_id_y 0
		.amdhsa_system_sgpr_workgroup_id_z 0
		.amdhsa_system_sgpr_workgroup_info 0
		.amdhsa_system_vgpr_workitem_id 0
		.amdhsa_next_free_vgpr 4
		.amdhsa_next_free_sgpr 10
		.amdhsa_accum_offset 4
		.amdhsa_reserve_vcc 1
		.amdhsa_float_round_mode_32 0
		.amdhsa_float_round_mode_16_64 0
		.amdhsa_float_denorm_mode_32 3
		.amdhsa_float_denorm_mode_16_64 3
		.amdhsa_dx10_clamp 1
		.amdhsa_ieee_mode 1
		.amdhsa_fp16_overflow 0
		.amdhsa_tg_split 0
		.amdhsa_exception_fp_ieee_invalid_op 0
		.amdhsa_exception_fp_denorm_src 0
		.amdhsa_exception_fp_ieee_div_zero 0
		.amdhsa_exception_fp_ieee_overflow 0
		.amdhsa_exception_fp_ieee_underflow 0
		.amdhsa_exception_fp_ieee_inexact 0
		.amdhsa_exception_int_div_zero 0
	.end_amdhsa_kernel
	.section	.text._ZN9rocsparseL12scale_kernelILj256ElDF16_fEEvT0_NS_24const_host_device_scalarIT2_EEPT1_b,"axG",@progbits,_ZN9rocsparseL12scale_kernelILj256ElDF16_fEEvT0_NS_24const_host_device_scalarIT2_EEPT1_b,comdat
.Lfunc_end56:
	.size	_ZN9rocsparseL12scale_kernelILj256ElDF16_fEEvT0_NS_24const_host_device_scalarIT2_EEPT1_b, .Lfunc_end56-_ZN9rocsparseL12scale_kernelILj256ElDF16_fEEvT0_NS_24const_host_device_scalarIT2_EEPT1_b
                                        ; -- End function
	.set _ZN9rocsparseL12scale_kernelILj256ElDF16_fEEvT0_NS_24const_host_device_scalarIT2_EEPT1_b.num_vgpr, 4
	.set _ZN9rocsparseL12scale_kernelILj256ElDF16_fEEvT0_NS_24const_host_device_scalarIT2_EEPT1_b.num_agpr, 0
	.set _ZN9rocsparseL12scale_kernelILj256ElDF16_fEEvT0_NS_24const_host_device_scalarIT2_EEPT1_b.numbered_sgpr, 10
	.set _ZN9rocsparseL12scale_kernelILj256ElDF16_fEEvT0_NS_24const_host_device_scalarIT2_EEPT1_b.num_named_barrier, 0
	.set _ZN9rocsparseL12scale_kernelILj256ElDF16_fEEvT0_NS_24const_host_device_scalarIT2_EEPT1_b.private_seg_size, 0
	.set _ZN9rocsparseL12scale_kernelILj256ElDF16_fEEvT0_NS_24const_host_device_scalarIT2_EEPT1_b.uses_vcc, 1
	.set _ZN9rocsparseL12scale_kernelILj256ElDF16_fEEvT0_NS_24const_host_device_scalarIT2_EEPT1_b.uses_flat_scratch, 0
	.set _ZN9rocsparseL12scale_kernelILj256ElDF16_fEEvT0_NS_24const_host_device_scalarIT2_EEPT1_b.has_dyn_sized_stack, 0
	.set _ZN9rocsparseL12scale_kernelILj256ElDF16_fEEvT0_NS_24const_host_device_scalarIT2_EEPT1_b.has_recursion, 0
	.set _ZN9rocsparseL12scale_kernelILj256ElDF16_fEEvT0_NS_24const_host_device_scalarIT2_EEPT1_b.has_indirect_call, 0
	.section	.AMDGPU.csdata,"",@progbits
; Kernel info:
; codeLenInByte = 156
; TotalNumSgprs: 16
; NumVgprs: 4
; NumAgprs: 0
; TotalNumVgprs: 4
; ScratchSize: 0
; MemoryBound: 0
; FloatMode: 240
; IeeeMode: 1
; LDSByteSize: 0 bytes/workgroup (compile time only)
; SGPRBlocks: 1
; VGPRBlocks: 0
; NumSGPRsForWavesPerEU: 16
; NumVGPRsForWavesPerEU: 4
; AccumOffset: 4
; Occupancy: 8
; WaveLimiterHint : 0
; COMPUTE_PGM_RSRC2:SCRATCH_EN: 0
; COMPUTE_PGM_RSRC2:USER_SGPR: 2
; COMPUTE_PGM_RSRC2:TRAP_HANDLER: 0
; COMPUTE_PGM_RSRC2:TGID_X_EN: 1
; COMPUTE_PGM_RSRC2:TGID_Y_EN: 0
; COMPUTE_PGM_RSRC2:TGID_Z_EN: 0
; COMPUTE_PGM_RSRC2:TIDIG_COMP_CNT: 0
; COMPUTE_PGM_RSRC3_GFX90A:ACCUM_OFFSET: 0
; COMPUTE_PGM_RSRC3_GFX90A:TG_SPLIT: 0
	.section	.text._ZN9rocsparseL12scale_kernelILj256EliiEEvT0_NS_24const_host_device_scalarIT2_EEPT1_b,"axG",@progbits,_ZN9rocsparseL12scale_kernelILj256EliiEEvT0_NS_24const_host_device_scalarIT2_EEPT1_b,comdat
	.globl	_ZN9rocsparseL12scale_kernelILj256EliiEEvT0_NS_24const_host_device_scalarIT2_EEPT1_b ; -- Begin function _ZN9rocsparseL12scale_kernelILj256EliiEEvT0_NS_24const_host_device_scalarIT2_EEPT1_b
	.p2align	8
	.type	_ZN9rocsparseL12scale_kernelILj256EliiEEvT0_NS_24const_host_device_scalarIT2_EEPT1_b,@function
_ZN9rocsparseL12scale_kernelILj256EliiEEvT0_NS_24const_host_device_scalarIT2_EEPT1_b: ; @_ZN9rocsparseL12scale_kernelILj256EliiEEvT0_NS_24const_host_device_scalarIT2_EEPT1_b
; %bb.0:
	s_load_dword s3, s[0:1], 0x18
	s_load_dwordx4 s[4:7], s[0:1], 0x0
	s_waitcnt lgkmcnt(0)
	s_bitcmp0_b32 s3, 0
	s_cbranch_scc0 .LBB57_2
; %bb.1:
	s_load_dword s3, s[6:7], 0x0
	s_cbranch_execz .LBB57_3
	s_branch .LBB57_4
.LBB57_2:
                                        ; implicit-def: $sgpr3
.LBB57_3:
	s_waitcnt lgkmcnt(0)
	s_mov_b32 s3, s6
.LBB57_4:
	s_waitcnt lgkmcnt(0)
	s_cmp_eq_u32 s3, 1
	s_cbranch_scc1 .LBB57_10
; %bb.5:
	v_lshl_or_b32 v0, s2, 8, v0
	v_mov_b32_e32 v1, 0
	v_cmp_gt_i64_e32 vcc, s[4:5], v[0:1]
	s_and_saveexec_b64 s[4:5], vcc
	s_cbranch_execz .LBB57_10
; %bb.6:
	s_load_dwordx2 s[0:1], s[0:1], 0x10
	s_cmp_eq_u32 s3, 0
	s_waitcnt lgkmcnt(0)
	v_lshl_add_u64 v[0:1], v[0:1], 2, s[0:1]
	s_cbranch_scc1 .LBB57_8
; %bb.7:
	global_load_dword v2, v[0:1], off
	s_waitcnt vmcnt(0)
	v_mul_lo_u32 v2, v2, s3
	s_branch .LBB57_9
.LBB57_8:
	v_mov_b32_e32 v2, 0
.LBB57_9:
	global_store_dword v[0:1], v2, off
.LBB57_10:
	s_endpgm
	.section	.rodata,"a",@progbits
	.p2align	6, 0x0
	.amdhsa_kernel _ZN9rocsparseL12scale_kernelILj256EliiEEvT0_NS_24const_host_device_scalarIT2_EEPT1_b
		.amdhsa_group_segment_fixed_size 0
		.amdhsa_private_segment_fixed_size 0
		.amdhsa_kernarg_size 28
		.amdhsa_user_sgpr_count 2
		.amdhsa_user_sgpr_dispatch_ptr 0
		.amdhsa_user_sgpr_queue_ptr 0
		.amdhsa_user_sgpr_kernarg_segment_ptr 1
		.amdhsa_user_sgpr_dispatch_id 0
		.amdhsa_user_sgpr_kernarg_preload_length 0
		.amdhsa_user_sgpr_kernarg_preload_offset 0
		.amdhsa_user_sgpr_private_segment_size 0
		.amdhsa_uses_dynamic_stack 0
		.amdhsa_enable_private_segment 0
		.amdhsa_system_sgpr_workgroup_id_x 1
		.amdhsa_system_sgpr_workgroup_id_y 0
		.amdhsa_system_sgpr_workgroup_id_z 0
		.amdhsa_system_sgpr_workgroup_info 0
		.amdhsa_system_vgpr_workitem_id 0
		.amdhsa_next_free_vgpr 3
		.amdhsa_next_free_sgpr 8
		.amdhsa_accum_offset 4
		.amdhsa_reserve_vcc 1
		.amdhsa_float_round_mode_32 0
		.amdhsa_float_round_mode_16_64 0
		.amdhsa_float_denorm_mode_32 3
		.amdhsa_float_denorm_mode_16_64 3
		.amdhsa_dx10_clamp 1
		.amdhsa_ieee_mode 1
		.amdhsa_fp16_overflow 0
		.amdhsa_tg_split 0
		.amdhsa_exception_fp_ieee_invalid_op 0
		.amdhsa_exception_fp_denorm_src 0
		.amdhsa_exception_fp_ieee_div_zero 0
		.amdhsa_exception_fp_ieee_overflow 0
		.amdhsa_exception_fp_ieee_underflow 0
		.amdhsa_exception_fp_ieee_inexact 0
		.amdhsa_exception_int_div_zero 0
	.end_amdhsa_kernel
	.section	.text._ZN9rocsparseL12scale_kernelILj256EliiEEvT0_NS_24const_host_device_scalarIT2_EEPT1_b,"axG",@progbits,_ZN9rocsparseL12scale_kernelILj256EliiEEvT0_NS_24const_host_device_scalarIT2_EEPT1_b,comdat
.Lfunc_end57:
	.size	_ZN9rocsparseL12scale_kernelILj256EliiEEvT0_NS_24const_host_device_scalarIT2_EEPT1_b, .Lfunc_end57-_ZN9rocsparseL12scale_kernelILj256EliiEEvT0_NS_24const_host_device_scalarIT2_EEPT1_b
                                        ; -- End function
	.set _ZN9rocsparseL12scale_kernelILj256EliiEEvT0_NS_24const_host_device_scalarIT2_EEPT1_b.num_vgpr, 3
	.set _ZN9rocsparseL12scale_kernelILj256EliiEEvT0_NS_24const_host_device_scalarIT2_EEPT1_b.num_agpr, 0
	.set _ZN9rocsparseL12scale_kernelILj256EliiEEvT0_NS_24const_host_device_scalarIT2_EEPT1_b.numbered_sgpr, 8
	.set _ZN9rocsparseL12scale_kernelILj256EliiEEvT0_NS_24const_host_device_scalarIT2_EEPT1_b.num_named_barrier, 0
	.set _ZN9rocsparseL12scale_kernelILj256EliiEEvT0_NS_24const_host_device_scalarIT2_EEPT1_b.private_seg_size, 0
	.set _ZN9rocsparseL12scale_kernelILj256EliiEEvT0_NS_24const_host_device_scalarIT2_EEPT1_b.uses_vcc, 1
	.set _ZN9rocsparseL12scale_kernelILj256EliiEEvT0_NS_24const_host_device_scalarIT2_EEPT1_b.uses_flat_scratch, 0
	.set _ZN9rocsparseL12scale_kernelILj256EliiEEvT0_NS_24const_host_device_scalarIT2_EEPT1_b.has_dyn_sized_stack, 0
	.set _ZN9rocsparseL12scale_kernelILj256EliiEEvT0_NS_24const_host_device_scalarIT2_EEPT1_b.has_recursion, 0
	.set _ZN9rocsparseL12scale_kernelILj256EliiEEvT0_NS_24const_host_device_scalarIT2_EEPT1_b.has_indirect_call, 0
	.section	.AMDGPU.csdata,"",@progbits
; Kernel info:
; codeLenInByte = 156
; TotalNumSgprs: 14
; NumVgprs: 3
; NumAgprs: 0
; TotalNumVgprs: 3
; ScratchSize: 0
; MemoryBound: 0
; FloatMode: 240
; IeeeMode: 1
; LDSByteSize: 0 bytes/workgroup (compile time only)
; SGPRBlocks: 1
; VGPRBlocks: 0
; NumSGPRsForWavesPerEU: 14
; NumVGPRsForWavesPerEU: 3
; AccumOffset: 4
; Occupancy: 8
; WaveLimiterHint : 0
; COMPUTE_PGM_RSRC2:SCRATCH_EN: 0
; COMPUTE_PGM_RSRC2:USER_SGPR: 2
; COMPUTE_PGM_RSRC2:TRAP_HANDLER: 0
; COMPUTE_PGM_RSRC2:TGID_X_EN: 1
; COMPUTE_PGM_RSRC2:TGID_Y_EN: 0
; COMPUTE_PGM_RSRC2:TGID_Z_EN: 0
; COMPUTE_PGM_RSRC2:TIDIG_COMP_CNT: 0
; COMPUTE_PGM_RSRC3_GFX90A:ACCUM_OFFSET: 0
; COMPUTE_PGM_RSRC3_GFX90A:TG_SPLIT: 0
	.section	.text._ZN9rocsparseL12scale_kernelILj256ElffEEvT0_NS_24const_host_device_scalarIT2_EEPT1_b,"axG",@progbits,_ZN9rocsparseL12scale_kernelILj256ElffEEvT0_NS_24const_host_device_scalarIT2_EEPT1_b,comdat
	.globl	_ZN9rocsparseL12scale_kernelILj256ElffEEvT0_NS_24const_host_device_scalarIT2_EEPT1_b ; -- Begin function _ZN9rocsparseL12scale_kernelILj256ElffEEvT0_NS_24const_host_device_scalarIT2_EEPT1_b
	.p2align	8
	.type	_ZN9rocsparseL12scale_kernelILj256ElffEEvT0_NS_24const_host_device_scalarIT2_EEPT1_b,@function
_ZN9rocsparseL12scale_kernelILj256ElffEEvT0_NS_24const_host_device_scalarIT2_EEPT1_b: ; @_ZN9rocsparseL12scale_kernelILj256ElffEEvT0_NS_24const_host_device_scalarIT2_EEPT1_b
; %bb.0:
	s_load_dword s3, s[0:1], 0x18
	s_load_dwordx4 s[4:7], s[0:1], 0x0
	s_waitcnt lgkmcnt(0)
	s_bitcmp1_b32 s3, 0
	s_cselect_b64 s[8:9], -1, 0
	s_and_b64 vcc, exec, s[8:9]
	s_cbranch_vccnz .LBB58_2
; %bb.1:
	s_load_dword s6, s[6:7], 0x0
.LBB58_2:
	s_waitcnt lgkmcnt(0)
	v_cmp_eq_f32_e64 s[8:9], s6, 1.0
	s_and_b64 vcc, exec, s[8:9]
	s_cbranch_vccnz .LBB58_7
; %bb.3:
	v_lshl_or_b32 v0, s2, 8, v0
	v_mov_b32_e32 v1, 0
	v_cmp_gt_i64_e32 vcc, s[4:5], v[0:1]
	s_and_saveexec_b64 s[2:3], vcc
	s_cbranch_execz .LBB58_7
; %bb.4:
	s_load_dwordx2 s[0:1], s[0:1], 0x10
	v_cmp_eq_f32_e64 s[2:3], s6, 0
	s_and_b64 vcc, exec, s[2:3]
	s_waitcnt lgkmcnt(0)
	v_lshl_add_u64 v[2:3], v[0:1], 2, s[0:1]
	s_cbranch_vccnz .LBB58_6
; %bb.5:
	global_load_dword v0, v[2:3], off
	s_waitcnt vmcnt(0)
	v_mul_f32_e32 v1, s6, v0
.LBB58_6:
	global_store_dword v[2:3], v1, off
.LBB58_7:
	s_endpgm
	.section	.rodata,"a",@progbits
	.p2align	6, 0x0
	.amdhsa_kernel _ZN9rocsparseL12scale_kernelILj256ElffEEvT0_NS_24const_host_device_scalarIT2_EEPT1_b
		.amdhsa_group_segment_fixed_size 0
		.amdhsa_private_segment_fixed_size 0
		.amdhsa_kernarg_size 28
		.amdhsa_user_sgpr_count 2
		.amdhsa_user_sgpr_dispatch_ptr 0
		.amdhsa_user_sgpr_queue_ptr 0
		.amdhsa_user_sgpr_kernarg_segment_ptr 1
		.amdhsa_user_sgpr_dispatch_id 0
		.amdhsa_user_sgpr_kernarg_preload_length 0
		.amdhsa_user_sgpr_kernarg_preload_offset 0
		.amdhsa_user_sgpr_private_segment_size 0
		.amdhsa_uses_dynamic_stack 0
		.amdhsa_enable_private_segment 0
		.amdhsa_system_sgpr_workgroup_id_x 1
		.amdhsa_system_sgpr_workgroup_id_y 0
		.amdhsa_system_sgpr_workgroup_id_z 0
		.amdhsa_system_sgpr_workgroup_info 0
		.amdhsa_system_vgpr_workitem_id 0
		.amdhsa_next_free_vgpr 4
		.amdhsa_next_free_sgpr 10
		.amdhsa_accum_offset 4
		.amdhsa_reserve_vcc 1
		.amdhsa_float_round_mode_32 0
		.amdhsa_float_round_mode_16_64 0
		.amdhsa_float_denorm_mode_32 3
		.amdhsa_float_denorm_mode_16_64 3
		.amdhsa_dx10_clamp 1
		.amdhsa_ieee_mode 1
		.amdhsa_fp16_overflow 0
		.amdhsa_tg_split 0
		.amdhsa_exception_fp_ieee_invalid_op 0
		.amdhsa_exception_fp_denorm_src 0
		.amdhsa_exception_fp_ieee_div_zero 0
		.amdhsa_exception_fp_ieee_overflow 0
		.amdhsa_exception_fp_ieee_underflow 0
		.amdhsa_exception_fp_ieee_inexact 0
		.amdhsa_exception_int_div_zero 0
	.end_amdhsa_kernel
	.section	.text._ZN9rocsparseL12scale_kernelILj256ElffEEvT0_NS_24const_host_device_scalarIT2_EEPT1_b,"axG",@progbits,_ZN9rocsparseL12scale_kernelILj256ElffEEvT0_NS_24const_host_device_scalarIT2_EEPT1_b,comdat
.Lfunc_end58:
	.size	_ZN9rocsparseL12scale_kernelILj256ElffEEvT0_NS_24const_host_device_scalarIT2_EEPT1_b, .Lfunc_end58-_ZN9rocsparseL12scale_kernelILj256ElffEEvT0_NS_24const_host_device_scalarIT2_EEPT1_b
                                        ; -- End function
	.set _ZN9rocsparseL12scale_kernelILj256ElffEEvT0_NS_24const_host_device_scalarIT2_EEPT1_b.num_vgpr, 4
	.set _ZN9rocsparseL12scale_kernelILj256ElffEEvT0_NS_24const_host_device_scalarIT2_EEPT1_b.num_agpr, 0
	.set _ZN9rocsparseL12scale_kernelILj256ElffEEvT0_NS_24const_host_device_scalarIT2_EEPT1_b.numbered_sgpr, 10
	.set _ZN9rocsparseL12scale_kernelILj256ElffEEvT0_NS_24const_host_device_scalarIT2_EEPT1_b.num_named_barrier, 0
	.set _ZN9rocsparseL12scale_kernelILj256ElffEEvT0_NS_24const_host_device_scalarIT2_EEPT1_b.private_seg_size, 0
	.set _ZN9rocsparseL12scale_kernelILj256ElffEEvT0_NS_24const_host_device_scalarIT2_EEPT1_b.uses_vcc, 1
	.set _ZN9rocsparseL12scale_kernelILj256ElffEEvT0_NS_24const_host_device_scalarIT2_EEPT1_b.uses_flat_scratch, 0
	.set _ZN9rocsparseL12scale_kernelILj256ElffEEvT0_NS_24const_host_device_scalarIT2_EEPT1_b.has_dyn_sized_stack, 0
	.set _ZN9rocsparseL12scale_kernelILj256ElffEEvT0_NS_24const_host_device_scalarIT2_EEPT1_b.has_recursion, 0
	.set _ZN9rocsparseL12scale_kernelILj256ElffEEvT0_NS_24const_host_device_scalarIT2_EEPT1_b.has_indirect_call, 0
	.section	.AMDGPU.csdata,"",@progbits
; Kernel info:
; codeLenInByte = 152
; TotalNumSgprs: 16
; NumVgprs: 4
; NumAgprs: 0
; TotalNumVgprs: 4
; ScratchSize: 0
; MemoryBound: 0
; FloatMode: 240
; IeeeMode: 1
; LDSByteSize: 0 bytes/workgroup (compile time only)
; SGPRBlocks: 1
; VGPRBlocks: 0
; NumSGPRsForWavesPerEU: 16
; NumVGPRsForWavesPerEU: 4
; AccumOffset: 4
; Occupancy: 8
; WaveLimiterHint : 0
; COMPUTE_PGM_RSRC2:SCRATCH_EN: 0
; COMPUTE_PGM_RSRC2:USER_SGPR: 2
; COMPUTE_PGM_RSRC2:TRAP_HANDLER: 0
; COMPUTE_PGM_RSRC2:TGID_X_EN: 1
; COMPUTE_PGM_RSRC2:TGID_Y_EN: 0
; COMPUTE_PGM_RSRC2:TGID_Z_EN: 0
; COMPUTE_PGM_RSRC2:TIDIG_COMP_CNT: 0
; COMPUTE_PGM_RSRC3_GFX90A:ACCUM_OFFSET: 0
; COMPUTE_PGM_RSRC3_GFX90A:TG_SPLIT: 0
	.section	.text._ZN9rocsparseL12scale_kernelILj256ElddEEvT0_NS_24const_host_device_scalarIT2_EEPT1_b,"axG",@progbits,_ZN9rocsparseL12scale_kernelILj256ElddEEvT0_NS_24const_host_device_scalarIT2_EEPT1_b,comdat
	.globl	_ZN9rocsparseL12scale_kernelILj256ElddEEvT0_NS_24const_host_device_scalarIT2_EEPT1_b ; -- Begin function _ZN9rocsparseL12scale_kernelILj256ElddEEvT0_NS_24const_host_device_scalarIT2_EEPT1_b
	.p2align	8
	.type	_ZN9rocsparseL12scale_kernelILj256ElddEEvT0_NS_24const_host_device_scalarIT2_EEPT1_b,@function
_ZN9rocsparseL12scale_kernelILj256ElddEEvT0_NS_24const_host_device_scalarIT2_EEPT1_b: ; @_ZN9rocsparseL12scale_kernelILj256ElddEEvT0_NS_24const_host_device_scalarIT2_EEPT1_b
; %bb.0:
	s_load_dword s3, s[0:1], 0x18
	s_load_dwordx4 s[4:7], s[0:1], 0x0
	s_waitcnt lgkmcnt(0)
	s_bitcmp1_b32 s3, 0
	s_cselect_b64 s[8:9], -1, 0
	s_and_b64 vcc, exec, s[8:9]
	v_mov_b64_e32 v[2:3], s[6:7]
	s_cbranch_vccnz .LBB59_2
; %bb.1:
	v_mov_b64_e32 v[2:3], s[6:7]
	flat_load_dwordx2 v[2:3], v[2:3]
.LBB59_2:
	s_waitcnt vmcnt(0) lgkmcnt(0)
	v_cmp_neq_f64_e32 vcc, 1.0, v[2:3]
	s_and_saveexec_b64 s[6:7], vcc
	s_cbranch_execz .LBB59_7
; %bb.3:
	v_lshl_or_b32 v0, s2, 8, v0
	v_mov_b32_e32 v1, 0
	v_cmp_gt_i64_e32 vcc, s[4:5], v[0:1]
	s_and_b64 exec, exec, vcc
	s_cbranch_execz .LBB59_7
; %bb.4:
	s_load_dwordx2 s[0:1], s[0:1], 0x10
	v_mov_b64_e32 v[4:5], 0
	v_cmp_neq_f64_e32 vcc, 0, v[2:3]
	s_waitcnt lgkmcnt(0)
	v_lshl_add_u64 v[0:1], v[0:1], 3, s[0:1]
	s_and_saveexec_b64 s[0:1], vcc
	s_cbranch_execz .LBB59_6
; %bb.5:
	global_load_dwordx2 v[4:5], v[0:1], off
	s_waitcnt vmcnt(0)
	v_mul_f64 v[4:5], v[2:3], v[4:5]
.LBB59_6:
	s_or_b64 exec, exec, s[0:1]
	global_store_dwordx2 v[0:1], v[4:5], off
.LBB59_7:
	s_endpgm
	.section	.rodata,"a",@progbits
	.p2align	6, 0x0
	.amdhsa_kernel _ZN9rocsparseL12scale_kernelILj256ElddEEvT0_NS_24const_host_device_scalarIT2_EEPT1_b
		.amdhsa_group_segment_fixed_size 0
		.amdhsa_private_segment_fixed_size 0
		.amdhsa_kernarg_size 28
		.amdhsa_user_sgpr_count 2
		.amdhsa_user_sgpr_dispatch_ptr 0
		.amdhsa_user_sgpr_queue_ptr 0
		.amdhsa_user_sgpr_kernarg_segment_ptr 1
		.amdhsa_user_sgpr_dispatch_id 0
		.amdhsa_user_sgpr_kernarg_preload_length 0
		.amdhsa_user_sgpr_kernarg_preload_offset 0
		.amdhsa_user_sgpr_private_segment_size 0
		.amdhsa_uses_dynamic_stack 0
		.amdhsa_enable_private_segment 0
		.amdhsa_system_sgpr_workgroup_id_x 1
		.amdhsa_system_sgpr_workgroup_id_y 0
		.amdhsa_system_sgpr_workgroup_id_z 0
		.amdhsa_system_sgpr_workgroup_info 0
		.amdhsa_system_vgpr_workitem_id 0
		.amdhsa_next_free_vgpr 6
		.amdhsa_next_free_sgpr 10
		.amdhsa_accum_offset 8
		.amdhsa_reserve_vcc 1
		.amdhsa_float_round_mode_32 0
		.amdhsa_float_round_mode_16_64 0
		.amdhsa_float_denorm_mode_32 3
		.amdhsa_float_denorm_mode_16_64 3
		.amdhsa_dx10_clamp 1
		.amdhsa_ieee_mode 1
		.amdhsa_fp16_overflow 0
		.amdhsa_tg_split 0
		.amdhsa_exception_fp_ieee_invalid_op 0
		.amdhsa_exception_fp_denorm_src 0
		.amdhsa_exception_fp_ieee_div_zero 0
		.amdhsa_exception_fp_ieee_overflow 0
		.amdhsa_exception_fp_ieee_underflow 0
		.amdhsa_exception_fp_ieee_inexact 0
		.amdhsa_exception_int_div_zero 0
	.end_amdhsa_kernel
	.section	.text._ZN9rocsparseL12scale_kernelILj256ElddEEvT0_NS_24const_host_device_scalarIT2_EEPT1_b,"axG",@progbits,_ZN9rocsparseL12scale_kernelILj256ElddEEvT0_NS_24const_host_device_scalarIT2_EEPT1_b,comdat
.Lfunc_end59:
	.size	_ZN9rocsparseL12scale_kernelILj256ElddEEvT0_NS_24const_host_device_scalarIT2_EEPT1_b, .Lfunc_end59-_ZN9rocsparseL12scale_kernelILj256ElddEEvT0_NS_24const_host_device_scalarIT2_EEPT1_b
                                        ; -- End function
	.set _ZN9rocsparseL12scale_kernelILj256ElddEEvT0_NS_24const_host_device_scalarIT2_EEPT1_b.num_vgpr, 6
	.set _ZN9rocsparseL12scale_kernelILj256ElddEEvT0_NS_24const_host_device_scalarIT2_EEPT1_b.num_agpr, 0
	.set _ZN9rocsparseL12scale_kernelILj256ElddEEvT0_NS_24const_host_device_scalarIT2_EEPT1_b.numbered_sgpr, 10
	.set _ZN9rocsparseL12scale_kernelILj256ElddEEvT0_NS_24const_host_device_scalarIT2_EEPT1_b.num_named_barrier, 0
	.set _ZN9rocsparseL12scale_kernelILj256ElddEEvT0_NS_24const_host_device_scalarIT2_EEPT1_b.private_seg_size, 0
	.set _ZN9rocsparseL12scale_kernelILj256ElddEEvT0_NS_24const_host_device_scalarIT2_EEPT1_b.uses_vcc, 1
	.set _ZN9rocsparseL12scale_kernelILj256ElddEEvT0_NS_24const_host_device_scalarIT2_EEPT1_b.uses_flat_scratch, 0
	.set _ZN9rocsparseL12scale_kernelILj256ElddEEvT0_NS_24const_host_device_scalarIT2_EEPT1_b.has_dyn_sized_stack, 0
	.set _ZN9rocsparseL12scale_kernelILj256ElddEEvT0_NS_24const_host_device_scalarIT2_EEPT1_b.has_recursion, 0
	.set _ZN9rocsparseL12scale_kernelILj256ElddEEvT0_NS_24const_host_device_scalarIT2_EEPT1_b.has_indirect_call, 0
	.section	.AMDGPU.csdata,"",@progbits
; Kernel info:
; codeLenInByte = 164
; TotalNumSgprs: 16
; NumVgprs: 6
; NumAgprs: 0
; TotalNumVgprs: 6
; ScratchSize: 0
; MemoryBound: 1
; FloatMode: 240
; IeeeMode: 1
; LDSByteSize: 0 bytes/workgroup (compile time only)
; SGPRBlocks: 1
; VGPRBlocks: 0
; NumSGPRsForWavesPerEU: 16
; NumVGPRsForWavesPerEU: 6
; AccumOffset: 8
; Occupancy: 8
; WaveLimiterHint : 0
; COMPUTE_PGM_RSRC2:SCRATCH_EN: 0
; COMPUTE_PGM_RSRC2:USER_SGPR: 2
; COMPUTE_PGM_RSRC2:TRAP_HANDLER: 0
; COMPUTE_PGM_RSRC2:TGID_X_EN: 1
; COMPUTE_PGM_RSRC2:TGID_Y_EN: 0
; COMPUTE_PGM_RSRC2:TGID_Z_EN: 0
; COMPUTE_PGM_RSRC2:TIDIG_COMP_CNT: 0
; COMPUTE_PGM_RSRC3_GFX90A:ACCUM_OFFSET: 1
; COMPUTE_PGM_RSRC3_GFX90A:TG_SPLIT: 0
	.section	.text._ZN9rocsparseL12scale_kernelILj256El21rocsparse_complex_numIfES2_EEvT0_NS_24const_host_device_scalarIT2_EEPT1_b,"axG",@progbits,_ZN9rocsparseL12scale_kernelILj256El21rocsparse_complex_numIfES2_EEvT0_NS_24const_host_device_scalarIT2_EEPT1_b,comdat
	.globl	_ZN9rocsparseL12scale_kernelILj256El21rocsparse_complex_numIfES2_EEvT0_NS_24const_host_device_scalarIT2_EEPT1_b ; -- Begin function _ZN9rocsparseL12scale_kernelILj256El21rocsparse_complex_numIfES2_EEvT0_NS_24const_host_device_scalarIT2_EEPT1_b
	.p2align	8
	.type	_ZN9rocsparseL12scale_kernelILj256El21rocsparse_complex_numIfES2_EEvT0_NS_24const_host_device_scalarIT2_EEPT1_b,@function
_ZN9rocsparseL12scale_kernelILj256El21rocsparse_complex_numIfES2_EEvT0_NS_24const_host_device_scalarIT2_EEPT1_b: ; @_ZN9rocsparseL12scale_kernelILj256El21rocsparse_complex_numIfES2_EEvT0_NS_24const_host_device_scalarIT2_EEPT1_b
; %bb.0:
	s_load_dword s3, s[0:1], 0x18
	s_load_dwordx4 s[8:11], s[0:1], 0x0
	s_or_b32 s4, s0, 8
	s_waitcnt lgkmcnt(0)
	s_bitcmp1_b32 s3, 0
	s_cselect_b32 s3, s1, s11
	s_cselect_b32 s4, s4, s10
	v_mov_b32_e32 v2, s4
	v_mov_b32_e32 v3, s3
	flat_load_dwordx2 v[2:3], v[2:3]
	s_waitcnt vmcnt(0) lgkmcnt(0)
	v_cmp_neq_f32_e32 vcc, 1.0, v2
	v_cmp_neq_f32_e64 s[4:5], 0, v3
	s_or_b64 s[4:5], vcc, s[4:5]
	s_and_saveexec_b64 s[6:7], s[4:5]
	s_cbranch_execz .LBB60_6
; %bb.1:
	v_lshl_or_b32 v0, s2, 8, v0
	v_mov_b32_e32 v1, 0
	v_cmp_gt_i64_e32 vcc, s[8:9], v[0:1]
	s_and_b64 exec, exec, vcc
	s_cbranch_execz .LBB60_6
; %bb.2:
	s_load_dwordx2 s[2:3], s[0:1], 0x10
	v_cmp_neq_f32_e32 vcc, 0, v2
	v_cmp_neq_f32_e64 s[0:1], 0, v3
	s_or_b64 s[0:1], vcc, s[0:1]
	s_waitcnt lgkmcnt(0)
	v_lshl_add_u64 v[0:1], v[0:1], 3, s[2:3]
	s_and_saveexec_b64 s[2:3], s[0:1]
	s_xor_b64 s[0:1], exec, s[2:3]
	s_cbranch_execz .LBB60_4
; %bb.3:
	global_load_dwordx2 v[4:5], v[0:1], off
	v_mov_b32_e32 v6, v3
	s_waitcnt vmcnt(0)
	v_xor_b32_e32 v8, 0x80000000, v5
	v_mov_b32_e32 v9, v4
	v_pk_mul_f32 v[6:7], v[6:7], v[8:9] op_sel_hi:[0,1]
	v_pk_fma_f32 v[2:3], v[4:5], v[2:3], v[6:7] op_sel_hi:[1,0,1]
	global_store_dwordx2 v[0:1], v[2:3], off
                                        ; implicit-def: $vgpr0_vgpr1
.LBB60_4:
	s_andn2_saveexec_b64 s[0:1], s[0:1]
	s_cbranch_execz .LBB60_6
; %bb.5:
	v_mov_b32_e32 v2, 0
	v_mov_b32_e32 v3, v2
	global_store_dwordx2 v[0:1], v[2:3], off
.LBB60_6:
	s_endpgm
	.section	.rodata,"a",@progbits
	.p2align	6, 0x0
	.amdhsa_kernel _ZN9rocsparseL12scale_kernelILj256El21rocsparse_complex_numIfES2_EEvT0_NS_24const_host_device_scalarIT2_EEPT1_b
		.amdhsa_group_segment_fixed_size 0
		.amdhsa_private_segment_fixed_size 0
		.amdhsa_kernarg_size 28
		.amdhsa_user_sgpr_count 2
		.amdhsa_user_sgpr_dispatch_ptr 0
		.amdhsa_user_sgpr_queue_ptr 0
		.amdhsa_user_sgpr_kernarg_segment_ptr 1
		.amdhsa_user_sgpr_dispatch_id 0
		.amdhsa_user_sgpr_kernarg_preload_length 0
		.amdhsa_user_sgpr_kernarg_preload_offset 0
		.amdhsa_user_sgpr_private_segment_size 0
		.amdhsa_uses_dynamic_stack 0
		.amdhsa_enable_private_segment 0
		.amdhsa_system_sgpr_workgroup_id_x 1
		.amdhsa_system_sgpr_workgroup_id_y 0
		.amdhsa_system_sgpr_workgroup_id_z 0
		.amdhsa_system_sgpr_workgroup_info 0
		.amdhsa_system_vgpr_workitem_id 0
		.amdhsa_next_free_vgpr 10
		.amdhsa_next_free_sgpr 12
		.amdhsa_accum_offset 12
		.amdhsa_reserve_vcc 1
		.amdhsa_float_round_mode_32 0
		.amdhsa_float_round_mode_16_64 0
		.amdhsa_float_denorm_mode_32 3
		.amdhsa_float_denorm_mode_16_64 3
		.amdhsa_dx10_clamp 1
		.amdhsa_ieee_mode 1
		.amdhsa_fp16_overflow 0
		.amdhsa_tg_split 0
		.amdhsa_exception_fp_ieee_invalid_op 0
		.amdhsa_exception_fp_denorm_src 0
		.amdhsa_exception_fp_ieee_div_zero 0
		.amdhsa_exception_fp_ieee_overflow 0
		.amdhsa_exception_fp_ieee_underflow 0
		.amdhsa_exception_fp_ieee_inexact 0
		.amdhsa_exception_int_div_zero 0
	.end_amdhsa_kernel
	.section	.text._ZN9rocsparseL12scale_kernelILj256El21rocsparse_complex_numIfES2_EEvT0_NS_24const_host_device_scalarIT2_EEPT1_b,"axG",@progbits,_ZN9rocsparseL12scale_kernelILj256El21rocsparse_complex_numIfES2_EEvT0_NS_24const_host_device_scalarIT2_EEPT1_b,comdat
.Lfunc_end60:
	.size	_ZN9rocsparseL12scale_kernelILj256El21rocsparse_complex_numIfES2_EEvT0_NS_24const_host_device_scalarIT2_EEPT1_b, .Lfunc_end60-_ZN9rocsparseL12scale_kernelILj256El21rocsparse_complex_numIfES2_EEvT0_NS_24const_host_device_scalarIT2_EEPT1_b
                                        ; -- End function
	.set _ZN9rocsparseL12scale_kernelILj256El21rocsparse_complex_numIfES2_EEvT0_NS_24const_host_device_scalarIT2_EEPT1_b.num_vgpr, 10
	.set _ZN9rocsparseL12scale_kernelILj256El21rocsparse_complex_numIfES2_EEvT0_NS_24const_host_device_scalarIT2_EEPT1_b.num_agpr, 0
	.set _ZN9rocsparseL12scale_kernelILj256El21rocsparse_complex_numIfES2_EEvT0_NS_24const_host_device_scalarIT2_EEPT1_b.numbered_sgpr, 12
	.set _ZN9rocsparseL12scale_kernelILj256El21rocsparse_complex_numIfES2_EEvT0_NS_24const_host_device_scalarIT2_EEPT1_b.num_named_barrier, 0
	.set _ZN9rocsparseL12scale_kernelILj256El21rocsparse_complex_numIfES2_EEvT0_NS_24const_host_device_scalarIT2_EEPT1_b.private_seg_size, 0
	.set _ZN9rocsparseL12scale_kernelILj256El21rocsparse_complex_numIfES2_EEvT0_NS_24const_host_device_scalarIT2_EEPT1_b.uses_vcc, 1
	.set _ZN9rocsparseL12scale_kernelILj256El21rocsparse_complex_numIfES2_EEvT0_NS_24const_host_device_scalarIT2_EEPT1_b.uses_flat_scratch, 0
	.set _ZN9rocsparseL12scale_kernelILj256El21rocsparse_complex_numIfES2_EEvT0_NS_24const_host_device_scalarIT2_EEPT1_b.has_dyn_sized_stack, 0
	.set _ZN9rocsparseL12scale_kernelILj256El21rocsparse_complex_numIfES2_EEvT0_NS_24const_host_device_scalarIT2_EEPT1_b.has_recursion, 0
	.set _ZN9rocsparseL12scale_kernelILj256El21rocsparse_complex_numIfES2_EEvT0_NS_24const_host_device_scalarIT2_EEPT1_b.has_indirect_call, 0
	.section	.AMDGPU.csdata,"",@progbits
; Kernel info:
; codeLenInByte = 232
; TotalNumSgprs: 18
; NumVgprs: 10
; NumAgprs: 0
; TotalNumVgprs: 10
; ScratchSize: 0
; MemoryBound: 0
; FloatMode: 240
; IeeeMode: 1
; LDSByteSize: 0 bytes/workgroup (compile time only)
; SGPRBlocks: 2
; VGPRBlocks: 1
; NumSGPRsForWavesPerEU: 18
; NumVGPRsForWavesPerEU: 10
; AccumOffset: 12
; Occupancy: 8
; WaveLimiterHint : 0
; COMPUTE_PGM_RSRC2:SCRATCH_EN: 0
; COMPUTE_PGM_RSRC2:USER_SGPR: 2
; COMPUTE_PGM_RSRC2:TRAP_HANDLER: 0
; COMPUTE_PGM_RSRC2:TGID_X_EN: 1
; COMPUTE_PGM_RSRC2:TGID_Y_EN: 0
; COMPUTE_PGM_RSRC2:TGID_Z_EN: 0
; COMPUTE_PGM_RSRC2:TIDIG_COMP_CNT: 0
; COMPUTE_PGM_RSRC3_GFX90A:ACCUM_OFFSET: 2
; COMPUTE_PGM_RSRC3_GFX90A:TG_SPLIT: 0
	.section	.text._ZN9rocsparseL12scale_kernelILj256El21rocsparse_complex_numIdES2_EEvT0_NS_24const_host_device_scalarIT2_EEPT1_b,"axG",@progbits,_ZN9rocsparseL12scale_kernelILj256El21rocsparse_complex_numIdES2_EEvT0_NS_24const_host_device_scalarIT2_EEPT1_b,comdat
	.globl	_ZN9rocsparseL12scale_kernelILj256El21rocsparse_complex_numIdES2_EEvT0_NS_24const_host_device_scalarIT2_EEPT1_b ; -- Begin function _ZN9rocsparseL12scale_kernelILj256El21rocsparse_complex_numIdES2_EEvT0_NS_24const_host_device_scalarIT2_EEPT1_b
	.p2align	8
	.type	_ZN9rocsparseL12scale_kernelILj256El21rocsparse_complex_numIdES2_EEvT0_NS_24const_host_device_scalarIT2_EEPT1_b,@function
_ZN9rocsparseL12scale_kernelILj256El21rocsparse_complex_numIdES2_EEvT0_NS_24const_host_device_scalarIT2_EEPT1_b: ; @_ZN9rocsparseL12scale_kernelILj256El21rocsparse_complex_numIdES2_EEvT0_NS_24const_host_device_scalarIT2_EEPT1_b
; %bb.0:
	s_load_dword s3, s[0:1], 0x20
	s_load_dwordx4 s[8:11], s[0:1], 0x0
	s_or_b32 s4, s0, 8
	s_waitcnt lgkmcnt(0)
	s_bitcmp1_b32 s3, 0
	s_cselect_b32 s3, s1, s11
	s_cselect_b32 s4, s4, s10
	v_mov_b32_e32 v2, s4
	v_mov_b32_e32 v3, s3
	flat_load_dwordx4 v[2:5], v[2:3]
	s_waitcnt vmcnt(0) lgkmcnt(0)
	v_cmp_neq_f64_e32 vcc, 1.0, v[2:3]
	v_cmp_neq_f64_e64 s[4:5], 0, v[4:5]
	s_or_b64 s[4:5], vcc, s[4:5]
	s_and_saveexec_b64 s[6:7], s[4:5]
	s_cbranch_execz .LBB61_5
; %bb.1:
	v_lshl_or_b32 v0, s2, 8, v0
	v_mov_b32_e32 v1, 0
	v_cmp_gt_i64_e32 vcc, s[8:9], v[0:1]
	s_and_b64 exec, exec, vcc
	s_cbranch_execz .LBB61_5
; %bb.2:
	s_load_dwordx2 s[2:3], s[0:1], 0x18
	v_cmp_neq_f64_e32 vcc, 0, v[2:3]
	v_cmp_neq_f64_e64 s[0:1], 0, v[4:5]
	v_mov_b64_e32 v[6:7], 0
	s_or_b64 s[4:5], vcc, s[0:1]
	s_waitcnt lgkmcnt(0)
	v_lshl_add_u64 v[0:1], v[0:1], 4, s[2:3]
	v_mov_b64_e32 v[8:9], 0
	s_and_saveexec_b64 s[0:1], s[4:5]
	s_cbranch_execz .LBB61_4
; %bb.3:
	global_load_dwordx4 v[10:13], v[0:1], off
	s_waitcnt vmcnt(0)
	v_mul_f64 v[6:7], v[4:5], -v[12:13]
	v_mul_f64 v[8:9], v[4:5], v[10:11]
	v_fmac_f64_e32 v[6:7], v[10:11], v[2:3]
	v_fmac_f64_e32 v[8:9], v[12:13], v[2:3]
.LBB61_4:
	s_or_b64 exec, exec, s[0:1]
	global_store_dwordx4 v[0:1], v[6:9], off
.LBB61_5:
	s_endpgm
	.section	.rodata,"a",@progbits
	.p2align	6, 0x0
	.amdhsa_kernel _ZN9rocsparseL12scale_kernelILj256El21rocsparse_complex_numIdES2_EEvT0_NS_24const_host_device_scalarIT2_EEPT1_b
		.amdhsa_group_segment_fixed_size 0
		.amdhsa_private_segment_fixed_size 0
		.amdhsa_kernarg_size 36
		.amdhsa_user_sgpr_count 2
		.amdhsa_user_sgpr_dispatch_ptr 0
		.amdhsa_user_sgpr_queue_ptr 0
		.amdhsa_user_sgpr_kernarg_segment_ptr 1
		.amdhsa_user_sgpr_dispatch_id 0
		.amdhsa_user_sgpr_kernarg_preload_length 0
		.amdhsa_user_sgpr_kernarg_preload_offset 0
		.amdhsa_user_sgpr_private_segment_size 0
		.amdhsa_uses_dynamic_stack 0
		.amdhsa_enable_private_segment 0
		.amdhsa_system_sgpr_workgroup_id_x 1
		.amdhsa_system_sgpr_workgroup_id_y 0
		.amdhsa_system_sgpr_workgroup_id_z 0
		.amdhsa_system_sgpr_workgroup_info 0
		.amdhsa_system_vgpr_workitem_id 0
		.amdhsa_next_free_vgpr 14
		.amdhsa_next_free_sgpr 12
		.amdhsa_accum_offset 16
		.amdhsa_reserve_vcc 1
		.amdhsa_float_round_mode_32 0
		.amdhsa_float_round_mode_16_64 0
		.amdhsa_float_denorm_mode_32 3
		.amdhsa_float_denorm_mode_16_64 3
		.amdhsa_dx10_clamp 1
		.amdhsa_ieee_mode 1
		.amdhsa_fp16_overflow 0
		.amdhsa_tg_split 0
		.amdhsa_exception_fp_ieee_invalid_op 0
		.amdhsa_exception_fp_denorm_src 0
		.amdhsa_exception_fp_ieee_div_zero 0
		.amdhsa_exception_fp_ieee_overflow 0
		.amdhsa_exception_fp_ieee_underflow 0
		.amdhsa_exception_fp_ieee_inexact 0
		.amdhsa_exception_int_div_zero 0
	.end_amdhsa_kernel
	.section	.text._ZN9rocsparseL12scale_kernelILj256El21rocsparse_complex_numIdES2_EEvT0_NS_24const_host_device_scalarIT2_EEPT1_b,"axG",@progbits,_ZN9rocsparseL12scale_kernelILj256El21rocsparse_complex_numIdES2_EEvT0_NS_24const_host_device_scalarIT2_EEPT1_b,comdat
.Lfunc_end61:
	.size	_ZN9rocsparseL12scale_kernelILj256El21rocsparse_complex_numIdES2_EEvT0_NS_24const_host_device_scalarIT2_EEPT1_b, .Lfunc_end61-_ZN9rocsparseL12scale_kernelILj256El21rocsparse_complex_numIdES2_EEvT0_NS_24const_host_device_scalarIT2_EEPT1_b
                                        ; -- End function
	.set _ZN9rocsparseL12scale_kernelILj256El21rocsparse_complex_numIdES2_EEvT0_NS_24const_host_device_scalarIT2_EEPT1_b.num_vgpr, 14
	.set _ZN9rocsparseL12scale_kernelILj256El21rocsparse_complex_numIdES2_EEvT0_NS_24const_host_device_scalarIT2_EEPT1_b.num_agpr, 0
	.set _ZN9rocsparseL12scale_kernelILj256El21rocsparse_complex_numIdES2_EEvT0_NS_24const_host_device_scalarIT2_EEPT1_b.numbered_sgpr, 12
	.set _ZN9rocsparseL12scale_kernelILj256El21rocsparse_complex_numIdES2_EEvT0_NS_24const_host_device_scalarIT2_EEPT1_b.num_named_barrier, 0
	.set _ZN9rocsparseL12scale_kernelILj256El21rocsparse_complex_numIdES2_EEvT0_NS_24const_host_device_scalarIT2_EEPT1_b.private_seg_size, 0
	.set _ZN9rocsparseL12scale_kernelILj256El21rocsparse_complex_numIdES2_EEvT0_NS_24const_host_device_scalarIT2_EEPT1_b.uses_vcc, 1
	.set _ZN9rocsparseL12scale_kernelILj256El21rocsparse_complex_numIdES2_EEvT0_NS_24const_host_device_scalarIT2_EEPT1_b.uses_flat_scratch, 0
	.set _ZN9rocsparseL12scale_kernelILj256El21rocsparse_complex_numIdES2_EEvT0_NS_24const_host_device_scalarIT2_EEPT1_b.has_dyn_sized_stack, 0
	.set _ZN9rocsparseL12scale_kernelILj256El21rocsparse_complex_numIdES2_EEvT0_NS_24const_host_device_scalarIT2_EEPT1_b.has_recursion, 0
	.set _ZN9rocsparseL12scale_kernelILj256El21rocsparse_complex_numIdES2_EEvT0_NS_24const_host_device_scalarIT2_EEPT1_b.has_indirect_call, 0
	.section	.AMDGPU.csdata,"",@progbits
; Kernel info:
; codeLenInByte = 208
; TotalNumSgprs: 18
; NumVgprs: 14
; NumAgprs: 0
; TotalNumVgprs: 14
; ScratchSize: 0
; MemoryBound: 0
; FloatMode: 240
; IeeeMode: 1
; LDSByteSize: 0 bytes/workgroup (compile time only)
; SGPRBlocks: 2
; VGPRBlocks: 1
; NumSGPRsForWavesPerEU: 18
; NumVGPRsForWavesPerEU: 14
; AccumOffset: 16
; Occupancy: 8
; WaveLimiterHint : 0
; COMPUTE_PGM_RSRC2:SCRATCH_EN: 0
; COMPUTE_PGM_RSRC2:USER_SGPR: 2
; COMPUTE_PGM_RSRC2:TRAP_HANDLER: 0
; COMPUTE_PGM_RSRC2:TGID_X_EN: 1
; COMPUTE_PGM_RSRC2:TGID_Y_EN: 0
; COMPUTE_PGM_RSRC2:TGID_Z_EN: 0
; COMPUTE_PGM_RSRC2:TIDIG_COMP_CNT: 0
; COMPUTE_PGM_RSRC3_GFX90A:ACCUM_OFFSET: 3
; COMPUTE_PGM_RSRC3_GFX90A:TG_SPLIT: 0
	.section	.text._ZN9rocsparseL15scale_2d_kernelILj256EiDF16_EEvT0_S1_llNS_24const_host_device_scalarIT1_EEPS3_16rocsparse_order_b,"axG",@progbits,_ZN9rocsparseL15scale_2d_kernelILj256EiDF16_EEvT0_S1_llNS_24const_host_device_scalarIT1_EEPS3_16rocsparse_order_b,comdat
	.globl	_ZN9rocsparseL15scale_2d_kernelILj256EiDF16_EEvT0_S1_llNS_24const_host_device_scalarIT1_EEPS3_16rocsparse_order_b ; -- Begin function _ZN9rocsparseL15scale_2d_kernelILj256EiDF16_EEvT0_S1_llNS_24const_host_device_scalarIT1_EEPS3_16rocsparse_order_b
	.p2align	8
	.type	_ZN9rocsparseL15scale_2d_kernelILj256EiDF16_EEvT0_S1_llNS_24const_host_device_scalarIT1_EEPS3_16rocsparse_order_b,@function
_ZN9rocsparseL15scale_2d_kernelILj256EiDF16_EEvT0_S1_llNS_24const_host_device_scalarIT1_EEPS3_16rocsparse_order_b: ; @_ZN9rocsparseL15scale_2d_kernelILj256EiDF16_EEvT0_S1_llNS_24const_host_device_scalarIT1_EEPS3_16rocsparse_order_b
; %bb.0:
	s_load_dwordx2 s[4:5], s[0:1], 0x28
	s_load_dwordx2 s[6:7], s[0:1], 0x18
	s_waitcnt lgkmcnt(0)
	s_bitcmp1_b32 s5, 0
	s_cselect_b64 s[8:9], -1, 0
	s_and_b64 vcc, exec, s[8:9]
	v_mov_b32_e32 v2, s6
	s_cbranch_vccnz .LBB62_2
; %bb.1:
	v_mov_b32_e32 v1, 0
	global_load_ushort v2, v1, s[6:7]
.LBB62_2:
	s_waitcnt vmcnt(0)
	v_cmp_eq_f16_e32 vcc, 1.0, v2
	s_cbranch_vccnz .LBB62_7
; %bb.3:
	s_load_dwordx2 s[6:7], s[0:1], 0x0
	v_lshl_or_b32 v0, s2, 8, v0
	s_waitcnt lgkmcnt(0)
	s_mul_i32 s2, s7, s6
	v_cmp_gt_i32_e32 vcc, s2, v0
	s_and_saveexec_b64 s[8:9], vcc
	s_cbranch_execz .LBB62_7
; %bb.4:
	s_cmp_eq_u32 s4, 1
	s_cselect_b32 s2, s6, s7
	s_abs_i32 s10, s2
	v_cvt_f32_u32_e32 v1, s10
	s_load_dwordx4 s[4:7], s[0:1], 0x8
	s_load_dwordx2 s[8:9], s[0:1], 0x20
	s_sub_i32 s0, 0, s10
	v_sub_u32_e32 v3, 0, v0
	v_rcp_iflag_f32_e32 v1, v1
	v_max_i32_e32 v3, v0, v3
	v_xor_b32_e32 v4, s2, v0
	v_ashrrev_i32_e32 v4, 31, v4
	v_mul_f32_e32 v1, 0x4f7ffffe, v1
	v_cvt_u32_f32_e32 v1, v1
	v_mul_lo_u32 v5, s0, v1
	v_mul_hi_u32 v5, v1, v5
	v_add_u32_e32 v1, v1, v5
	v_mul_hi_u32 v1, v3, v1
	v_mul_lo_u32 v5, v1, s10
	v_sub_u32_e32 v3, v3, v5
	v_add_u32_e32 v6, 1, v1
	v_cmp_le_u32_e32 vcc, s10, v3
	v_subrev_u32_e32 v5, s10, v3
	s_nop 0
	v_cndmask_b32_e32 v1, v1, v6, vcc
	v_cndmask_b32_e32 v3, v3, v5, vcc
	v_add_u32_e32 v5, 1, v1
	v_cmp_le_u32_e32 vcc, s10, v3
	v_mov_b32_e32 v3, 0
	s_nop 0
	v_cndmask_b32_e32 v1, v1, v5, vcc
	v_xor_b32_e32 v1, v1, v4
	v_sub_u32_e32 v4, v1, v4
	v_ashrrev_i32_e32 v5, 31, v4
	v_mul_lo_u32 v1, v4, s2
	s_waitcnt lgkmcnt(0)
	v_mul_lo_u32 v6, s4, v5
	v_mul_lo_u32 v7, s5, v4
	v_mad_u64_u32 v[4:5], s[0:1], s4, v4, 0
	s_ashr_i32 s0, s3, 31
	v_sub_u32_e32 v0, v0, v1
	v_add3_u32 v5, v5, v6, v7
	s_mul_hi_u32 s1, s6, s3
	s_mul_i32 s0, s6, s0
	v_ashrrev_i32_e32 v1, 31, v0
	s_add_i32 s0, s1, s0
	s_mul_i32 s1, s7, s3
	v_lshl_add_u64 v[4:5], v[4:5], 1, s[8:9]
	v_cmp_eq_f16_e32 vcc, 0, v2
	s_add_i32 s1, s0, s1
	s_mul_i32 s0, s6, s3
	v_lshl_add_u64 v[0:1], v[0:1], 1, v[4:5]
	v_lshl_add_u64 v[0:1], s[0:1], 1, v[0:1]
	s_cbranch_vccnz .LBB62_6
; %bb.5:
	global_load_ushort v3, v[0:1], off
	s_waitcnt vmcnt(0)
	v_mul_f16_e32 v3, v2, v3
.LBB62_6:
	global_store_short v[0:1], v3, off
.LBB62_7:
	s_endpgm
	.section	.rodata,"a",@progbits
	.p2align	6, 0x0
	.amdhsa_kernel _ZN9rocsparseL15scale_2d_kernelILj256EiDF16_EEvT0_S1_llNS_24const_host_device_scalarIT1_EEPS3_16rocsparse_order_b
		.amdhsa_group_segment_fixed_size 0
		.amdhsa_private_segment_fixed_size 0
		.amdhsa_kernarg_size 48
		.amdhsa_user_sgpr_count 2
		.amdhsa_user_sgpr_dispatch_ptr 0
		.amdhsa_user_sgpr_queue_ptr 0
		.amdhsa_user_sgpr_kernarg_segment_ptr 1
		.amdhsa_user_sgpr_dispatch_id 0
		.amdhsa_user_sgpr_kernarg_preload_length 0
		.amdhsa_user_sgpr_kernarg_preload_offset 0
		.amdhsa_user_sgpr_private_segment_size 0
		.amdhsa_uses_dynamic_stack 0
		.amdhsa_enable_private_segment 0
		.amdhsa_system_sgpr_workgroup_id_x 1
		.amdhsa_system_sgpr_workgroup_id_y 1
		.amdhsa_system_sgpr_workgroup_id_z 0
		.amdhsa_system_sgpr_workgroup_info 0
		.amdhsa_system_vgpr_workitem_id 0
		.amdhsa_next_free_vgpr 8
		.amdhsa_next_free_sgpr 11
		.amdhsa_accum_offset 8
		.amdhsa_reserve_vcc 1
		.amdhsa_float_round_mode_32 0
		.amdhsa_float_round_mode_16_64 0
		.amdhsa_float_denorm_mode_32 3
		.amdhsa_float_denorm_mode_16_64 3
		.amdhsa_dx10_clamp 1
		.amdhsa_ieee_mode 1
		.amdhsa_fp16_overflow 0
		.amdhsa_tg_split 0
		.amdhsa_exception_fp_ieee_invalid_op 0
		.amdhsa_exception_fp_denorm_src 0
		.amdhsa_exception_fp_ieee_div_zero 0
		.amdhsa_exception_fp_ieee_overflow 0
		.amdhsa_exception_fp_ieee_underflow 0
		.amdhsa_exception_fp_ieee_inexact 0
		.amdhsa_exception_int_div_zero 0
	.end_amdhsa_kernel
	.section	.text._ZN9rocsparseL15scale_2d_kernelILj256EiDF16_EEvT0_S1_llNS_24const_host_device_scalarIT1_EEPS3_16rocsparse_order_b,"axG",@progbits,_ZN9rocsparseL15scale_2d_kernelILj256EiDF16_EEvT0_S1_llNS_24const_host_device_scalarIT1_EEPS3_16rocsparse_order_b,comdat
.Lfunc_end62:
	.size	_ZN9rocsparseL15scale_2d_kernelILj256EiDF16_EEvT0_S1_llNS_24const_host_device_scalarIT1_EEPS3_16rocsparse_order_b, .Lfunc_end62-_ZN9rocsparseL15scale_2d_kernelILj256EiDF16_EEvT0_S1_llNS_24const_host_device_scalarIT1_EEPS3_16rocsparse_order_b
                                        ; -- End function
	.set _ZN9rocsparseL15scale_2d_kernelILj256EiDF16_EEvT0_S1_llNS_24const_host_device_scalarIT1_EEPS3_16rocsparse_order_b.num_vgpr, 8
	.set _ZN9rocsparseL15scale_2d_kernelILj256EiDF16_EEvT0_S1_llNS_24const_host_device_scalarIT1_EEPS3_16rocsparse_order_b.num_agpr, 0
	.set _ZN9rocsparseL15scale_2d_kernelILj256EiDF16_EEvT0_S1_llNS_24const_host_device_scalarIT1_EEPS3_16rocsparse_order_b.numbered_sgpr, 11
	.set _ZN9rocsparseL15scale_2d_kernelILj256EiDF16_EEvT0_S1_llNS_24const_host_device_scalarIT1_EEPS3_16rocsparse_order_b.num_named_barrier, 0
	.set _ZN9rocsparseL15scale_2d_kernelILj256EiDF16_EEvT0_S1_llNS_24const_host_device_scalarIT1_EEPS3_16rocsparse_order_b.private_seg_size, 0
	.set _ZN9rocsparseL15scale_2d_kernelILj256EiDF16_EEvT0_S1_llNS_24const_host_device_scalarIT1_EEPS3_16rocsparse_order_b.uses_vcc, 1
	.set _ZN9rocsparseL15scale_2d_kernelILj256EiDF16_EEvT0_S1_llNS_24const_host_device_scalarIT1_EEPS3_16rocsparse_order_b.uses_flat_scratch, 0
	.set _ZN9rocsparseL15scale_2d_kernelILj256EiDF16_EEvT0_S1_llNS_24const_host_device_scalarIT1_EEPS3_16rocsparse_order_b.has_dyn_sized_stack, 0
	.set _ZN9rocsparseL15scale_2d_kernelILj256EiDF16_EEvT0_S1_llNS_24const_host_device_scalarIT1_EEPS3_16rocsparse_order_b.has_recursion, 0
	.set _ZN9rocsparseL15scale_2d_kernelILj256EiDF16_EEvT0_S1_llNS_24const_host_device_scalarIT1_EEPS3_16rocsparse_order_b.has_indirect_call, 0
	.section	.AMDGPU.csdata,"",@progbits
; Kernel info:
; codeLenInByte = 404
; TotalNumSgprs: 17
; NumVgprs: 8
; NumAgprs: 0
; TotalNumVgprs: 8
; ScratchSize: 0
; MemoryBound: 0
; FloatMode: 240
; IeeeMode: 1
; LDSByteSize: 0 bytes/workgroup (compile time only)
; SGPRBlocks: 2
; VGPRBlocks: 0
; NumSGPRsForWavesPerEU: 17
; NumVGPRsForWavesPerEU: 8
; AccumOffset: 8
; Occupancy: 8
; WaveLimiterHint : 0
; COMPUTE_PGM_RSRC2:SCRATCH_EN: 0
; COMPUTE_PGM_RSRC2:USER_SGPR: 2
; COMPUTE_PGM_RSRC2:TRAP_HANDLER: 0
; COMPUTE_PGM_RSRC2:TGID_X_EN: 1
; COMPUTE_PGM_RSRC2:TGID_Y_EN: 1
; COMPUTE_PGM_RSRC2:TGID_Z_EN: 0
; COMPUTE_PGM_RSRC2:TIDIG_COMP_CNT: 0
; COMPUTE_PGM_RSRC3_GFX90A:ACCUM_OFFSET: 1
; COMPUTE_PGM_RSRC3_GFX90A:TG_SPLIT: 0
	.section	.text._ZN9rocsparseL15scale_2d_kernelILj256EiiEEvT0_S1_llNS_24const_host_device_scalarIT1_EEPS3_16rocsparse_order_b,"axG",@progbits,_ZN9rocsparseL15scale_2d_kernelILj256EiiEEvT0_S1_llNS_24const_host_device_scalarIT1_EEPS3_16rocsparse_order_b,comdat
	.globl	_ZN9rocsparseL15scale_2d_kernelILj256EiiEEvT0_S1_llNS_24const_host_device_scalarIT1_EEPS3_16rocsparse_order_b ; -- Begin function _ZN9rocsparseL15scale_2d_kernelILj256EiiEEvT0_S1_llNS_24const_host_device_scalarIT1_EEPS3_16rocsparse_order_b
	.p2align	8
	.type	_ZN9rocsparseL15scale_2d_kernelILj256EiiEEvT0_S1_llNS_24const_host_device_scalarIT1_EEPS3_16rocsparse_order_b,@function
_ZN9rocsparseL15scale_2d_kernelILj256EiiEEvT0_S1_llNS_24const_host_device_scalarIT1_EEPS3_16rocsparse_order_b: ; @_ZN9rocsparseL15scale_2d_kernelILj256EiiEEvT0_S1_llNS_24const_host_device_scalarIT1_EEPS3_16rocsparse_order_b
; %bb.0:
	s_load_dwordx2 s[4:5], s[0:1], 0x28
	s_load_dwordx2 s[6:7], s[0:1], 0x18
	s_waitcnt lgkmcnt(0)
	s_bitcmp0_b32 s5, 0
	s_cbranch_scc0 .LBB63_2
; %bb.1:
	s_load_dword s5, s[6:7], 0x0
	s_cbranch_execz .LBB63_3
	s_branch .LBB63_4
.LBB63_2:
                                        ; implicit-def: $sgpr5
.LBB63_3:
	s_waitcnt lgkmcnt(0)
	s_mov_b32 s5, s6
.LBB63_4:
	s_waitcnt lgkmcnt(0)
	s_cmp_eq_u32 s5, 1
	s_cbranch_scc1 .LBB63_10
; %bb.5:
	s_load_dwordx2 s[6:7], s[0:1], 0x0
	v_lshl_or_b32 v0, s2, 8, v0
	s_waitcnt lgkmcnt(0)
	s_mul_i32 s2, s7, s6
	v_cmp_gt_i32_e32 vcc, s2, v0
	s_and_saveexec_b64 s[8:9], vcc
	s_cbranch_execz .LBB63_10
; %bb.6:
	s_cmp_eq_u32 s4, 1
	s_cselect_b32 s2, s6, s7
	s_abs_i32 s4, s2
	v_cvt_f32_u32_e32 v1, s4
	s_load_dwordx4 s[8:11], s[0:1], 0x8
	s_load_dwordx2 s[6:7], s[0:1], 0x20
	s_sub_i32 s0, 0, s4
	v_sub_u32_e32 v2, 0, v0
	v_rcp_iflag_f32_e32 v1, v1
	v_max_i32_e32 v2, v0, v2
	v_xor_b32_e32 v3, s2, v0
	v_ashrrev_i32_e32 v3, 31, v3
	v_mul_f32_e32 v1, 0x4f7ffffe, v1
	v_cvt_u32_f32_e32 v1, v1
	s_waitcnt lgkmcnt(0)
	s_mul_hi_u32 s1, s10, s3
	v_mul_lo_u32 v4, s0, v1
	v_mul_hi_u32 v4, v1, v4
	v_add_u32_e32 v1, v1, v4
	v_mul_hi_u32 v1, v2, v1
	v_mul_lo_u32 v4, v1, s4
	v_sub_u32_e32 v2, v2, v4
	v_add_u32_e32 v5, 1, v1
	v_cmp_le_u32_e32 vcc, s4, v2
	v_subrev_u32_e32 v4, s4, v2
	s_ashr_i32 s0, s3, 31
	v_cndmask_b32_e32 v1, v1, v5, vcc
	v_cndmask_b32_e32 v2, v2, v4, vcc
	v_add_u32_e32 v4, 1, v1
	v_cmp_le_u32_e32 vcc, s4, v2
	s_mul_i32 s0, s10, s0
	s_add_i32 s0, s1, s0
	v_cndmask_b32_e32 v1, v1, v4, vcc
	v_xor_b32_e32 v1, v1, v3
	v_sub_u32_e32 v2, v1, v3
	v_ashrrev_i32_e32 v3, 31, v2
	v_mul_lo_u32 v1, v2, s2
	v_mul_lo_u32 v4, s8, v3
	;; [unrolled: 1-line block ×3, first 2 shown]
	v_mad_u64_u32 v[2:3], s[8:9], s8, v2, 0
	v_sub_u32_e32 v0, v0, v1
	v_add3_u32 v3, v3, v4, v5
	s_mul_i32 s1, s11, s3
	v_ashrrev_i32_e32 v1, 31, v0
	v_lshl_add_u64 v[2:3], v[2:3], 2, s[6:7]
	s_add_i32 s1, s0, s1
	s_mul_i32 s0, s10, s3
	v_lshl_add_u64 v[0:1], v[0:1], 2, v[2:3]
	s_cmp_eq_u32 s5, 0
	v_lshl_add_u64 v[0:1], s[0:1], 2, v[0:1]
	s_cbranch_scc1 .LBB63_8
; %bb.7:
	global_load_dword v2, v[0:1], off
	s_waitcnt vmcnt(0)
	v_mul_lo_u32 v2, v2, s5
	s_branch .LBB63_9
.LBB63_8:
	v_mov_b32_e32 v2, 0
.LBB63_9:
	global_store_dword v[0:1], v2, off
.LBB63_10:
	s_endpgm
	.section	.rodata,"a",@progbits
	.p2align	6, 0x0
	.amdhsa_kernel _ZN9rocsparseL15scale_2d_kernelILj256EiiEEvT0_S1_llNS_24const_host_device_scalarIT1_EEPS3_16rocsparse_order_b
		.amdhsa_group_segment_fixed_size 0
		.amdhsa_private_segment_fixed_size 0
		.amdhsa_kernarg_size 48
		.amdhsa_user_sgpr_count 2
		.amdhsa_user_sgpr_dispatch_ptr 0
		.amdhsa_user_sgpr_queue_ptr 0
		.amdhsa_user_sgpr_kernarg_segment_ptr 1
		.amdhsa_user_sgpr_dispatch_id 0
		.amdhsa_user_sgpr_kernarg_preload_length 0
		.amdhsa_user_sgpr_kernarg_preload_offset 0
		.amdhsa_user_sgpr_private_segment_size 0
		.amdhsa_uses_dynamic_stack 0
		.amdhsa_enable_private_segment 0
		.amdhsa_system_sgpr_workgroup_id_x 1
		.amdhsa_system_sgpr_workgroup_id_y 1
		.amdhsa_system_sgpr_workgroup_id_z 0
		.amdhsa_system_sgpr_workgroup_info 0
		.amdhsa_system_vgpr_workitem_id 0
		.amdhsa_next_free_vgpr 6
		.amdhsa_next_free_sgpr 12
		.amdhsa_accum_offset 8
		.amdhsa_reserve_vcc 1
		.amdhsa_float_round_mode_32 0
		.amdhsa_float_round_mode_16_64 0
		.amdhsa_float_denorm_mode_32 3
		.amdhsa_float_denorm_mode_16_64 3
		.amdhsa_dx10_clamp 1
		.amdhsa_ieee_mode 1
		.amdhsa_fp16_overflow 0
		.amdhsa_tg_split 0
		.amdhsa_exception_fp_ieee_invalid_op 0
		.amdhsa_exception_fp_denorm_src 0
		.amdhsa_exception_fp_ieee_div_zero 0
		.amdhsa_exception_fp_ieee_overflow 0
		.amdhsa_exception_fp_ieee_underflow 0
		.amdhsa_exception_fp_ieee_inexact 0
		.amdhsa_exception_int_div_zero 0
	.end_amdhsa_kernel
	.section	.text._ZN9rocsparseL15scale_2d_kernelILj256EiiEEvT0_S1_llNS_24const_host_device_scalarIT1_EEPS3_16rocsparse_order_b,"axG",@progbits,_ZN9rocsparseL15scale_2d_kernelILj256EiiEEvT0_S1_llNS_24const_host_device_scalarIT1_EEPS3_16rocsparse_order_b,comdat
.Lfunc_end63:
	.size	_ZN9rocsparseL15scale_2d_kernelILj256EiiEEvT0_S1_llNS_24const_host_device_scalarIT1_EEPS3_16rocsparse_order_b, .Lfunc_end63-_ZN9rocsparseL15scale_2d_kernelILj256EiiEEvT0_S1_llNS_24const_host_device_scalarIT1_EEPS3_16rocsparse_order_b
                                        ; -- End function
	.set _ZN9rocsparseL15scale_2d_kernelILj256EiiEEvT0_S1_llNS_24const_host_device_scalarIT1_EEPS3_16rocsparse_order_b.num_vgpr, 6
	.set _ZN9rocsparseL15scale_2d_kernelILj256EiiEEvT0_S1_llNS_24const_host_device_scalarIT1_EEPS3_16rocsparse_order_b.num_agpr, 0
	.set _ZN9rocsparseL15scale_2d_kernelILj256EiiEEvT0_S1_llNS_24const_host_device_scalarIT1_EEPS3_16rocsparse_order_b.numbered_sgpr, 12
	.set _ZN9rocsparseL15scale_2d_kernelILj256EiiEEvT0_S1_llNS_24const_host_device_scalarIT1_EEPS3_16rocsparse_order_b.num_named_barrier, 0
	.set _ZN9rocsparseL15scale_2d_kernelILj256EiiEEvT0_S1_llNS_24const_host_device_scalarIT1_EEPS3_16rocsparse_order_b.private_seg_size, 0
	.set _ZN9rocsparseL15scale_2d_kernelILj256EiiEEvT0_S1_llNS_24const_host_device_scalarIT1_EEPS3_16rocsparse_order_b.uses_vcc, 1
	.set _ZN9rocsparseL15scale_2d_kernelILj256EiiEEvT0_S1_llNS_24const_host_device_scalarIT1_EEPS3_16rocsparse_order_b.uses_flat_scratch, 0
	.set _ZN9rocsparseL15scale_2d_kernelILj256EiiEEvT0_S1_llNS_24const_host_device_scalarIT1_EEPS3_16rocsparse_order_b.has_dyn_sized_stack, 0
	.set _ZN9rocsparseL15scale_2d_kernelILj256EiiEEvT0_S1_llNS_24const_host_device_scalarIT1_EEPS3_16rocsparse_order_b.has_recursion, 0
	.set _ZN9rocsparseL15scale_2d_kernelILj256EiiEEvT0_S1_llNS_24const_host_device_scalarIT1_EEPS3_16rocsparse_order_b.has_indirect_call, 0
	.section	.AMDGPU.csdata,"",@progbits
; Kernel info:
; codeLenInByte = 404
; TotalNumSgprs: 18
; NumVgprs: 6
; NumAgprs: 0
; TotalNumVgprs: 6
; ScratchSize: 0
; MemoryBound: 0
; FloatMode: 240
; IeeeMode: 1
; LDSByteSize: 0 bytes/workgroup (compile time only)
; SGPRBlocks: 2
; VGPRBlocks: 0
; NumSGPRsForWavesPerEU: 18
; NumVGPRsForWavesPerEU: 6
; AccumOffset: 8
; Occupancy: 8
; WaveLimiterHint : 0
; COMPUTE_PGM_RSRC2:SCRATCH_EN: 0
; COMPUTE_PGM_RSRC2:USER_SGPR: 2
; COMPUTE_PGM_RSRC2:TRAP_HANDLER: 0
; COMPUTE_PGM_RSRC2:TGID_X_EN: 1
; COMPUTE_PGM_RSRC2:TGID_Y_EN: 1
; COMPUTE_PGM_RSRC2:TGID_Z_EN: 0
; COMPUTE_PGM_RSRC2:TIDIG_COMP_CNT: 0
; COMPUTE_PGM_RSRC3_GFX90A:ACCUM_OFFSET: 1
; COMPUTE_PGM_RSRC3_GFX90A:TG_SPLIT: 0
	.section	.text._ZN9rocsparseL15scale_2d_kernelILj256EifEEvT0_S1_llNS_24const_host_device_scalarIT1_EEPS3_16rocsparse_order_b,"axG",@progbits,_ZN9rocsparseL15scale_2d_kernelILj256EifEEvT0_S1_llNS_24const_host_device_scalarIT1_EEPS3_16rocsparse_order_b,comdat
	.globl	_ZN9rocsparseL15scale_2d_kernelILj256EifEEvT0_S1_llNS_24const_host_device_scalarIT1_EEPS3_16rocsparse_order_b ; -- Begin function _ZN9rocsparseL15scale_2d_kernelILj256EifEEvT0_S1_llNS_24const_host_device_scalarIT1_EEPS3_16rocsparse_order_b
	.p2align	8
	.type	_ZN9rocsparseL15scale_2d_kernelILj256EifEEvT0_S1_llNS_24const_host_device_scalarIT1_EEPS3_16rocsparse_order_b,@function
_ZN9rocsparseL15scale_2d_kernelILj256EifEEvT0_S1_llNS_24const_host_device_scalarIT1_EEPS3_16rocsparse_order_b: ; @_ZN9rocsparseL15scale_2d_kernelILj256EifEEvT0_S1_llNS_24const_host_device_scalarIT1_EEPS3_16rocsparse_order_b
; %bb.0:
	s_load_dwordx2 s[4:5], s[0:1], 0x28
	s_load_dwordx2 s[8:9], s[0:1], 0x18
	s_waitcnt lgkmcnt(0)
	s_bitcmp1_b32 s5, 0
	s_cselect_b64 s[6:7], -1, 0
	s_and_b64 vcc, exec, s[6:7]
	s_cbranch_vccnz .LBB64_2
; %bb.1:
	s_load_dword s8, s[8:9], 0x0
.LBB64_2:
	s_waitcnt lgkmcnt(0)
	v_cmp_eq_f32_e64 s[6:7], s8, 1.0
	s_and_b64 vcc, exec, s[6:7]
	s_cbranch_vccnz .LBB64_7
; %bb.3:
	s_load_dwordx2 s[6:7], s[0:1], 0x0
	v_lshl_or_b32 v0, s2, 8, v0
	s_waitcnt lgkmcnt(0)
	s_mul_i32 s2, s7, s6
	v_cmp_gt_i32_e32 vcc, s2, v0
	s_and_saveexec_b64 s[10:11], vcc
	s_cbranch_execz .LBB64_7
; %bb.4:
	s_cmp_eq_u32 s4, 1
	s_cselect_b32 s2, s6, s7
	s_abs_i32 s9, s2
	v_cvt_f32_u32_e32 v1, s9
	s_load_dwordx4 s[4:7], s[0:1], 0x8
	s_load_dwordx2 s[10:11], s[0:1], 0x20
	s_sub_i32 s0, 0, s9
	v_sub_u32_e32 v2, 0, v0
	v_rcp_iflag_f32_e32 v1, v1
	v_max_i32_e32 v2, v0, v2
	v_xor_b32_e32 v3, s2, v0
	v_ashrrev_i32_e32 v3, 31, v3
	v_mul_f32_e32 v1, 0x4f7ffffe, v1
	v_cvt_u32_f32_e32 v1, v1
	v_mul_lo_u32 v4, s0, v1
	v_mul_hi_u32 v4, v1, v4
	v_add_u32_e32 v1, v1, v4
	v_mul_hi_u32 v1, v2, v1
	v_mul_lo_u32 v4, v1, s9
	v_sub_u32_e32 v2, v2, v4
	v_add_u32_e32 v5, 1, v1
	v_cmp_le_u32_e32 vcc, s9, v2
	v_subrev_u32_e32 v4, s9, v2
	v_cmp_eq_f32_e64 s[0:1], s8, 0
	v_cndmask_b32_e32 v1, v1, v5, vcc
	v_cndmask_b32_e32 v2, v2, v4, vcc
	v_add_u32_e32 v4, 1, v1
	v_cmp_le_u32_e32 vcc, s9, v2
	v_mov_b32_e32 v2, 0
	s_nop 0
	v_cndmask_b32_e32 v1, v1, v4, vcc
	v_xor_b32_e32 v1, v1, v3
	v_sub_u32_e32 v3, v1, v3
	v_ashrrev_i32_e32 v4, 31, v3
	v_mul_lo_u32 v1, v3, s2
	s_waitcnt lgkmcnt(0)
	v_mul_lo_u32 v6, s4, v4
	v_mul_lo_u32 v7, s5, v3
	v_mad_u64_u32 v[4:5], s[4:5], s4, v3, 0
	s_ashr_i32 s2, s3, 31
	v_sub_u32_e32 v0, v0, v1
	v_add3_u32 v5, v5, v6, v7
	s_mul_hi_u32 s4, s6, s3
	s_mul_i32 s2, s6, s2
	v_ashrrev_i32_e32 v1, 31, v0
	s_add_i32 s2, s4, s2
	s_mul_i32 s4, s7, s3
	v_lshl_add_u64 v[4:5], v[4:5], 2, s[10:11]
	s_add_i32 s5, s2, s4
	s_mul_i32 s4, s6, s3
	v_lshl_add_u64 v[0:1], v[0:1], 2, v[4:5]
	v_lshl_add_u64 v[0:1], s[4:5], 2, v[0:1]
	s_and_b64 vcc, exec, s[0:1]
	s_cbranch_vccnz .LBB64_6
; %bb.5:
	global_load_dword v2, v[0:1], off
	s_waitcnt vmcnt(0)
	v_mul_f32_e32 v2, s8, v2
.LBB64_6:
	global_store_dword v[0:1], v2, off
.LBB64_7:
	s_endpgm
	.section	.rodata,"a",@progbits
	.p2align	6, 0x0
	.amdhsa_kernel _ZN9rocsparseL15scale_2d_kernelILj256EifEEvT0_S1_llNS_24const_host_device_scalarIT1_EEPS3_16rocsparse_order_b
		.amdhsa_group_segment_fixed_size 0
		.amdhsa_private_segment_fixed_size 0
		.amdhsa_kernarg_size 48
		.amdhsa_user_sgpr_count 2
		.amdhsa_user_sgpr_dispatch_ptr 0
		.amdhsa_user_sgpr_queue_ptr 0
		.amdhsa_user_sgpr_kernarg_segment_ptr 1
		.amdhsa_user_sgpr_dispatch_id 0
		.amdhsa_user_sgpr_kernarg_preload_length 0
		.amdhsa_user_sgpr_kernarg_preload_offset 0
		.amdhsa_user_sgpr_private_segment_size 0
		.amdhsa_uses_dynamic_stack 0
		.amdhsa_enable_private_segment 0
		.amdhsa_system_sgpr_workgroup_id_x 1
		.amdhsa_system_sgpr_workgroup_id_y 1
		.amdhsa_system_sgpr_workgroup_id_z 0
		.amdhsa_system_sgpr_workgroup_info 0
		.amdhsa_system_vgpr_workitem_id 0
		.amdhsa_next_free_vgpr 8
		.amdhsa_next_free_sgpr 12
		.amdhsa_accum_offset 8
		.amdhsa_reserve_vcc 1
		.amdhsa_float_round_mode_32 0
		.amdhsa_float_round_mode_16_64 0
		.amdhsa_float_denorm_mode_32 3
		.amdhsa_float_denorm_mode_16_64 3
		.amdhsa_dx10_clamp 1
		.amdhsa_ieee_mode 1
		.amdhsa_fp16_overflow 0
		.amdhsa_tg_split 0
		.amdhsa_exception_fp_ieee_invalid_op 0
		.amdhsa_exception_fp_denorm_src 0
		.amdhsa_exception_fp_ieee_div_zero 0
		.amdhsa_exception_fp_ieee_overflow 0
		.amdhsa_exception_fp_ieee_underflow 0
		.amdhsa_exception_fp_ieee_inexact 0
		.amdhsa_exception_int_div_zero 0
	.end_amdhsa_kernel
	.section	.text._ZN9rocsparseL15scale_2d_kernelILj256EifEEvT0_S1_llNS_24const_host_device_scalarIT1_EEPS3_16rocsparse_order_b,"axG",@progbits,_ZN9rocsparseL15scale_2d_kernelILj256EifEEvT0_S1_llNS_24const_host_device_scalarIT1_EEPS3_16rocsparse_order_b,comdat
.Lfunc_end64:
	.size	_ZN9rocsparseL15scale_2d_kernelILj256EifEEvT0_S1_llNS_24const_host_device_scalarIT1_EEPS3_16rocsparse_order_b, .Lfunc_end64-_ZN9rocsparseL15scale_2d_kernelILj256EifEEvT0_S1_llNS_24const_host_device_scalarIT1_EEPS3_16rocsparse_order_b
                                        ; -- End function
	.set _ZN9rocsparseL15scale_2d_kernelILj256EifEEvT0_S1_llNS_24const_host_device_scalarIT1_EEPS3_16rocsparse_order_b.num_vgpr, 8
	.set _ZN9rocsparseL15scale_2d_kernelILj256EifEEvT0_S1_llNS_24const_host_device_scalarIT1_EEPS3_16rocsparse_order_b.num_agpr, 0
	.set _ZN9rocsparseL15scale_2d_kernelILj256EifEEvT0_S1_llNS_24const_host_device_scalarIT1_EEPS3_16rocsparse_order_b.numbered_sgpr, 12
	.set _ZN9rocsparseL15scale_2d_kernelILj256EifEEvT0_S1_llNS_24const_host_device_scalarIT1_EEPS3_16rocsparse_order_b.num_named_barrier, 0
	.set _ZN9rocsparseL15scale_2d_kernelILj256EifEEvT0_S1_llNS_24const_host_device_scalarIT1_EEPS3_16rocsparse_order_b.private_seg_size, 0
	.set _ZN9rocsparseL15scale_2d_kernelILj256EifEEvT0_S1_llNS_24const_host_device_scalarIT1_EEPS3_16rocsparse_order_b.uses_vcc, 1
	.set _ZN9rocsparseL15scale_2d_kernelILj256EifEEvT0_S1_llNS_24const_host_device_scalarIT1_EEPS3_16rocsparse_order_b.uses_flat_scratch, 0
	.set _ZN9rocsparseL15scale_2d_kernelILj256EifEEvT0_S1_llNS_24const_host_device_scalarIT1_EEPS3_16rocsparse_order_b.has_dyn_sized_stack, 0
	.set _ZN9rocsparseL15scale_2d_kernelILj256EifEEvT0_S1_llNS_24const_host_device_scalarIT1_EEPS3_16rocsparse_order_b.has_recursion, 0
	.set _ZN9rocsparseL15scale_2d_kernelILj256EifEEvT0_S1_llNS_24const_host_device_scalarIT1_EEPS3_16rocsparse_order_b.has_indirect_call, 0
	.section	.AMDGPU.csdata,"",@progbits
; Kernel info:
; codeLenInByte = 408
; TotalNumSgprs: 18
; NumVgprs: 8
; NumAgprs: 0
; TotalNumVgprs: 8
; ScratchSize: 0
; MemoryBound: 0
; FloatMode: 240
; IeeeMode: 1
; LDSByteSize: 0 bytes/workgroup (compile time only)
; SGPRBlocks: 2
; VGPRBlocks: 0
; NumSGPRsForWavesPerEU: 18
; NumVGPRsForWavesPerEU: 8
; AccumOffset: 8
; Occupancy: 8
; WaveLimiterHint : 0
; COMPUTE_PGM_RSRC2:SCRATCH_EN: 0
; COMPUTE_PGM_RSRC2:USER_SGPR: 2
; COMPUTE_PGM_RSRC2:TRAP_HANDLER: 0
; COMPUTE_PGM_RSRC2:TGID_X_EN: 1
; COMPUTE_PGM_RSRC2:TGID_Y_EN: 1
; COMPUTE_PGM_RSRC2:TGID_Z_EN: 0
; COMPUTE_PGM_RSRC2:TIDIG_COMP_CNT: 0
; COMPUTE_PGM_RSRC3_GFX90A:ACCUM_OFFSET: 1
; COMPUTE_PGM_RSRC3_GFX90A:TG_SPLIT: 0
	.section	.text._ZN9rocsparseL15scale_2d_kernelILj256EidEEvT0_S1_llNS_24const_host_device_scalarIT1_EEPS3_16rocsparse_order_b,"axG",@progbits,_ZN9rocsparseL15scale_2d_kernelILj256EidEEvT0_S1_llNS_24const_host_device_scalarIT1_EEPS3_16rocsparse_order_b,comdat
	.globl	_ZN9rocsparseL15scale_2d_kernelILj256EidEEvT0_S1_llNS_24const_host_device_scalarIT1_EEPS3_16rocsparse_order_b ; -- Begin function _ZN9rocsparseL15scale_2d_kernelILj256EidEEvT0_S1_llNS_24const_host_device_scalarIT1_EEPS3_16rocsparse_order_b
	.p2align	8
	.type	_ZN9rocsparseL15scale_2d_kernelILj256EidEEvT0_S1_llNS_24const_host_device_scalarIT1_EEPS3_16rocsparse_order_b,@function
_ZN9rocsparseL15scale_2d_kernelILj256EidEEvT0_S1_llNS_24const_host_device_scalarIT1_EEPS3_16rocsparse_order_b: ; @_ZN9rocsparseL15scale_2d_kernelILj256EidEEvT0_S1_llNS_24const_host_device_scalarIT1_EEPS3_16rocsparse_order_b
; %bb.0:
	s_load_dwordx2 s[4:5], s[0:1], 0x28
	s_load_dwordx2 s[6:7], s[0:1], 0x18
	s_waitcnt lgkmcnt(0)
	s_bitcmp1_b32 s5, 0
	s_cselect_b64 s[8:9], -1, 0
	s_and_b64 vcc, exec, s[8:9]
	v_mov_b64_e32 v[2:3], s[6:7]
	s_cbranch_vccnz .LBB65_2
; %bb.1:
	v_mov_b64_e32 v[2:3], s[6:7]
	flat_load_dwordx2 v[2:3], v[2:3]
.LBB65_2:
	s_waitcnt vmcnt(0) lgkmcnt(0)
	v_cmp_neq_f64_e32 vcc, 1.0, v[2:3]
	s_and_saveexec_b64 s[6:7], vcc
	s_cbranch_execz .LBB65_7
; %bb.3:
	s_load_dwordx2 s[6:7], s[0:1], 0x0
	v_lshl_or_b32 v0, s2, 8, v0
	s_waitcnt lgkmcnt(0)
	s_mul_i32 s2, s7, s6
	v_cmp_gt_i32_e32 vcc, s2, v0
	s_and_b64 exec, exec, vcc
	s_cbranch_execz .LBB65_7
; %bb.4:
	s_cmp_eq_u32 s4, 1
	s_cselect_b32 s2, s6, s7
	s_abs_i32 s10, s2
	v_cvt_f32_u32_e32 v1, s10
	s_load_dwordx4 s[4:7], s[0:1], 0x8
	s_load_dwordx2 s[8:9], s[0:1], 0x20
	s_sub_i32 s0, 0, s10
	v_sub_u32_e32 v4, 0, v0
	v_rcp_iflag_f32_e32 v1, v1
	v_max_i32_e32 v4, v0, v4
	v_xor_b32_e32 v5, s2, v0
	v_ashrrev_i32_e32 v5, 31, v5
	v_mul_f32_e32 v1, 0x4f7ffffe, v1
	v_cvt_u32_f32_e32 v1, v1
	v_mul_lo_u32 v6, s0, v1
	v_mul_hi_u32 v6, v1, v6
	v_add_u32_e32 v1, v1, v6
	v_mul_hi_u32 v1, v4, v1
	v_mul_lo_u32 v6, v1, s10
	v_sub_u32_e32 v4, v4, v6
	v_add_u32_e32 v7, 1, v1
	v_cmp_le_u32_e32 vcc, s10, v4
	v_subrev_u32_e32 v6, s10, v4
	s_nop 0
	v_cndmask_b32_e32 v1, v1, v7, vcc
	v_cndmask_b32_e32 v4, v4, v6, vcc
	v_add_u32_e32 v6, 1, v1
	v_cmp_le_u32_e32 vcc, s10, v4
	s_nop 1
	v_cndmask_b32_e32 v1, v1, v6, vcc
	v_xor_b32_e32 v1, v1, v5
	v_sub_u32_e32 v6, v1, v5
	v_ashrrev_i32_e32 v7, 31, v6
	v_mul_lo_u32 v1, v6, s2
	s_waitcnt lgkmcnt(0)
	v_mul_lo_u32 v8, s4, v7
	v_mul_lo_u32 v9, s5, v6
	v_mad_u64_u32 v[6:7], s[0:1], s4, v6, 0
	s_ashr_i32 s0, s3, 31
	v_sub_u32_e32 v4, v0, v1
	v_add3_u32 v7, v7, v8, v9
	s_mul_hi_u32 s1, s6, s3
	s_mul_i32 s0, s6, s0
	v_ashrrev_i32_e32 v5, 31, v4
	s_add_i32 s0, s1, s0
	s_mul_i32 s1, s7, s3
	v_lshl_add_u64 v[6:7], v[6:7], 3, s[8:9]
	s_add_i32 s1, s0, s1
	s_mul_i32 s0, s6, s3
	v_lshl_add_u64 v[4:5], v[4:5], 3, v[6:7]
	v_mov_b64_e32 v[0:1], 0
	v_cmp_neq_f64_e32 vcc, 0, v[2:3]
	v_lshl_add_u64 v[4:5], s[0:1], 3, v[4:5]
	s_and_saveexec_b64 s[0:1], vcc
	s_cbranch_execz .LBB65_6
; %bb.5:
	global_load_dwordx2 v[0:1], v[4:5], off
	s_waitcnt vmcnt(0)
	v_mul_f64 v[0:1], v[2:3], v[0:1]
.LBB65_6:
	s_or_b64 exec, exec, s[0:1]
	global_store_dwordx2 v[4:5], v[0:1], off
.LBB65_7:
	s_endpgm
	.section	.rodata,"a",@progbits
	.p2align	6, 0x0
	.amdhsa_kernel _ZN9rocsparseL15scale_2d_kernelILj256EidEEvT0_S1_llNS_24const_host_device_scalarIT1_EEPS3_16rocsparse_order_b
		.amdhsa_group_segment_fixed_size 0
		.amdhsa_private_segment_fixed_size 0
		.amdhsa_kernarg_size 48
		.amdhsa_user_sgpr_count 2
		.amdhsa_user_sgpr_dispatch_ptr 0
		.amdhsa_user_sgpr_queue_ptr 0
		.amdhsa_user_sgpr_kernarg_segment_ptr 1
		.amdhsa_user_sgpr_dispatch_id 0
		.amdhsa_user_sgpr_kernarg_preload_length 0
		.amdhsa_user_sgpr_kernarg_preload_offset 0
		.amdhsa_user_sgpr_private_segment_size 0
		.amdhsa_uses_dynamic_stack 0
		.amdhsa_enable_private_segment 0
		.amdhsa_system_sgpr_workgroup_id_x 1
		.amdhsa_system_sgpr_workgroup_id_y 1
		.amdhsa_system_sgpr_workgroup_id_z 0
		.amdhsa_system_sgpr_workgroup_info 0
		.amdhsa_system_vgpr_workitem_id 0
		.amdhsa_next_free_vgpr 10
		.amdhsa_next_free_sgpr 11
		.amdhsa_accum_offset 12
		.amdhsa_reserve_vcc 1
		.amdhsa_float_round_mode_32 0
		.amdhsa_float_round_mode_16_64 0
		.amdhsa_float_denorm_mode_32 3
		.amdhsa_float_denorm_mode_16_64 3
		.amdhsa_dx10_clamp 1
		.amdhsa_ieee_mode 1
		.amdhsa_fp16_overflow 0
		.amdhsa_tg_split 0
		.amdhsa_exception_fp_ieee_invalid_op 0
		.amdhsa_exception_fp_denorm_src 0
		.amdhsa_exception_fp_ieee_div_zero 0
		.amdhsa_exception_fp_ieee_overflow 0
		.amdhsa_exception_fp_ieee_underflow 0
		.amdhsa_exception_fp_ieee_inexact 0
		.amdhsa_exception_int_div_zero 0
	.end_amdhsa_kernel
	.section	.text._ZN9rocsparseL15scale_2d_kernelILj256EidEEvT0_S1_llNS_24const_host_device_scalarIT1_EEPS3_16rocsparse_order_b,"axG",@progbits,_ZN9rocsparseL15scale_2d_kernelILj256EidEEvT0_S1_llNS_24const_host_device_scalarIT1_EEPS3_16rocsparse_order_b,comdat
.Lfunc_end65:
	.size	_ZN9rocsparseL15scale_2d_kernelILj256EidEEvT0_S1_llNS_24const_host_device_scalarIT1_EEPS3_16rocsparse_order_b, .Lfunc_end65-_ZN9rocsparseL15scale_2d_kernelILj256EidEEvT0_S1_llNS_24const_host_device_scalarIT1_EEPS3_16rocsparse_order_b
                                        ; -- End function
	.set _ZN9rocsparseL15scale_2d_kernelILj256EidEEvT0_S1_llNS_24const_host_device_scalarIT1_EEPS3_16rocsparse_order_b.num_vgpr, 10
	.set _ZN9rocsparseL15scale_2d_kernelILj256EidEEvT0_S1_llNS_24const_host_device_scalarIT1_EEPS3_16rocsparse_order_b.num_agpr, 0
	.set _ZN9rocsparseL15scale_2d_kernelILj256EidEEvT0_S1_llNS_24const_host_device_scalarIT1_EEPS3_16rocsparse_order_b.numbered_sgpr, 11
	.set _ZN9rocsparseL15scale_2d_kernelILj256EidEEvT0_S1_llNS_24const_host_device_scalarIT1_EEPS3_16rocsparse_order_b.num_named_barrier, 0
	.set _ZN9rocsparseL15scale_2d_kernelILj256EidEEvT0_S1_llNS_24const_host_device_scalarIT1_EEPS3_16rocsparse_order_b.private_seg_size, 0
	.set _ZN9rocsparseL15scale_2d_kernelILj256EidEEvT0_S1_llNS_24const_host_device_scalarIT1_EEPS3_16rocsparse_order_b.uses_vcc, 1
	.set _ZN9rocsparseL15scale_2d_kernelILj256EidEEvT0_S1_llNS_24const_host_device_scalarIT1_EEPS3_16rocsparse_order_b.uses_flat_scratch, 0
	.set _ZN9rocsparseL15scale_2d_kernelILj256EidEEvT0_S1_llNS_24const_host_device_scalarIT1_EEPS3_16rocsparse_order_b.has_dyn_sized_stack, 0
	.set _ZN9rocsparseL15scale_2d_kernelILj256EidEEvT0_S1_llNS_24const_host_device_scalarIT1_EEPS3_16rocsparse_order_b.has_recursion, 0
	.set _ZN9rocsparseL15scale_2d_kernelILj256EidEEvT0_S1_llNS_24const_host_device_scalarIT1_EEPS3_16rocsparse_order_b.has_indirect_call, 0
	.section	.AMDGPU.csdata,"",@progbits
; Kernel info:
; codeLenInByte = 420
; TotalNumSgprs: 17
; NumVgprs: 10
; NumAgprs: 0
; TotalNumVgprs: 10
; ScratchSize: 0
; MemoryBound: 1
; FloatMode: 240
; IeeeMode: 1
; LDSByteSize: 0 bytes/workgroup (compile time only)
; SGPRBlocks: 2
; VGPRBlocks: 1
; NumSGPRsForWavesPerEU: 17
; NumVGPRsForWavesPerEU: 10
; AccumOffset: 12
; Occupancy: 8
; WaveLimiterHint : 0
; COMPUTE_PGM_RSRC2:SCRATCH_EN: 0
; COMPUTE_PGM_RSRC2:USER_SGPR: 2
; COMPUTE_PGM_RSRC2:TRAP_HANDLER: 0
; COMPUTE_PGM_RSRC2:TGID_X_EN: 1
; COMPUTE_PGM_RSRC2:TGID_Y_EN: 1
; COMPUTE_PGM_RSRC2:TGID_Z_EN: 0
; COMPUTE_PGM_RSRC2:TIDIG_COMP_CNT: 0
; COMPUTE_PGM_RSRC3_GFX90A:ACCUM_OFFSET: 2
; COMPUTE_PGM_RSRC3_GFX90A:TG_SPLIT: 0
	.section	.text._ZN9rocsparseL15scale_2d_kernelILj256Ei21rocsparse_complex_numIfEEEvT0_S3_llNS_24const_host_device_scalarIT1_EEPS5_16rocsparse_order_b,"axG",@progbits,_ZN9rocsparseL15scale_2d_kernelILj256Ei21rocsparse_complex_numIfEEEvT0_S3_llNS_24const_host_device_scalarIT1_EEPS5_16rocsparse_order_b,comdat
	.globl	_ZN9rocsparseL15scale_2d_kernelILj256Ei21rocsparse_complex_numIfEEEvT0_S3_llNS_24const_host_device_scalarIT1_EEPS5_16rocsparse_order_b ; -- Begin function _ZN9rocsparseL15scale_2d_kernelILj256Ei21rocsparse_complex_numIfEEEvT0_S3_llNS_24const_host_device_scalarIT1_EEPS5_16rocsparse_order_b
	.p2align	8
	.type	_ZN9rocsparseL15scale_2d_kernelILj256Ei21rocsparse_complex_numIfEEEvT0_S3_llNS_24const_host_device_scalarIT1_EEPS5_16rocsparse_order_b,@function
_ZN9rocsparseL15scale_2d_kernelILj256Ei21rocsparse_complex_numIfEEEvT0_S3_llNS_24const_host_device_scalarIT1_EEPS5_16rocsparse_order_b: ; @_ZN9rocsparseL15scale_2d_kernelILj256Ei21rocsparse_complex_numIfEEEvT0_S3_llNS_24const_host_device_scalarIT1_EEPS5_16rocsparse_order_b
; %bb.0:
	s_load_dwordx2 s[6:7], s[0:1], 0x28
	s_load_dwordx2 s[4:5], s[0:1], 0x18
	s_add_u32 s8, s0, 24
	s_addc_u32 s9, s1, 0
	s_waitcnt lgkmcnt(0)
	s_bitcmp1_b32 s7, 0
	s_cselect_b32 s5, s9, s5
	s_cselect_b32 s4, s8, s4
	v_mov_b32_e32 v2, s4
	v_mov_b32_e32 v3, s5
	flat_load_dwordx2 v[2:3], v[2:3]
	s_waitcnt vmcnt(0) lgkmcnt(0)
	v_cmp_neq_f32_e32 vcc, 1.0, v2
	v_cmp_neq_f32_e64 s[4:5], 0, v3
	s_or_b64 s[4:5], vcc, s[4:5]
	s_and_saveexec_b64 s[8:9], s[4:5]
	s_cbranch_execz .LBB66_6
; %bb.1:
	s_load_dwordx2 s[4:5], s[0:1], 0x0
	v_lshl_or_b32 v0, s2, 8, v0
	s_waitcnt lgkmcnt(0)
	s_mul_i32 s2, s5, s4
	v_cmp_gt_i32_e32 vcc, s2, v0
	s_and_b64 exec, exec, vcc
	s_cbranch_execz .LBB66_6
; %bb.2:
	s_cmp_eq_u32 s6, 1
	s_cselect_b32 s2, s4, s5
	s_abs_i32 s10, s2
	v_cvt_f32_u32_e32 v1, s10
	s_load_dwordx4 s[4:7], s[0:1], 0x8
	s_load_dwordx2 s[8:9], s[0:1], 0x20
	s_sub_i32 s0, 0, s10
	v_sub_u32_e32 v4, 0, v0
	v_rcp_iflag_f32_e32 v1, v1
	v_max_i32_e32 v4, v0, v4
	v_xor_b32_e32 v5, s2, v0
	v_ashrrev_i32_e32 v5, 31, v5
	v_mul_f32_e32 v1, 0x4f7ffffe, v1
	v_cvt_u32_f32_e32 v1, v1
	v_mul_lo_u32 v6, s0, v1
	v_mul_hi_u32 v6, v1, v6
	v_add_u32_e32 v1, v1, v6
	v_mul_hi_u32 v1, v4, v1
	v_mul_lo_u32 v6, v1, s10
	v_sub_u32_e32 v4, v4, v6
	v_add_u32_e32 v7, 1, v1
	v_cmp_le_u32_e32 vcc, s10, v4
	v_subrev_u32_e32 v6, s10, v4
	v_cmp_neq_f32_e64 s[0:1], 0, v3
	v_cndmask_b32_e32 v1, v1, v7, vcc
	v_cndmask_b32_e32 v4, v4, v6, vcc
	v_add_u32_e32 v6, 1, v1
	v_cmp_le_u32_e32 vcc, s10, v4
	s_nop 1
	v_cndmask_b32_e32 v1, v1, v6, vcc
	v_xor_b32_e32 v1, v1, v5
	v_sub_u32_e32 v4, v1, v5
	v_ashrrev_i32_e32 v5, 31, v4
	v_mul_lo_u32 v1, v4, s2
	s_waitcnt lgkmcnt(0)
	v_mul_lo_u32 v6, s4, v5
	v_mul_lo_u32 v7, s5, v4
	v_mad_u64_u32 v[4:5], s[4:5], s4, v4, 0
	s_ashr_i32 s2, s3, 31
	v_sub_u32_e32 v0, v0, v1
	v_add3_u32 v5, v5, v6, v7
	s_mul_hi_u32 s4, s6, s3
	s_mul_i32 s2, s6, s2
	v_ashrrev_i32_e32 v1, 31, v0
	s_add_i32 s2, s4, s2
	s_mul_i32 s4, s7, s3
	v_lshl_add_u64 v[4:5], v[4:5], 3, s[8:9]
	v_cmp_neq_f32_e32 vcc, 0, v2
	s_add_i32 s5, s2, s4
	s_mul_i32 s4, s6, s3
	v_lshl_add_u64 v[0:1], v[0:1], 3, v[4:5]
	s_or_b64 s[0:1], vcc, s[0:1]
	v_lshl_add_u64 v[0:1], s[4:5], 3, v[0:1]
	s_and_saveexec_b64 s[2:3], s[0:1]
	s_xor_b64 s[0:1], exec, s[2:3]
	s_cbranch_execz .LBB66_4
; %bb.3:
	global_load_dwordx2 v[4:5], v[0:1], off
	v_mov_b32_e32 v6, v3
	s_waitcnt vmcnt(0)
	v_xor_b32_e32 v8, 0x80000000, v5
	v_mov_b32_e32 v9, v4
	v_pk_mul_f32 v[6:7], v[6:7], v[8:9] op_sel_hi:[0,1]
	v_pk_fma_f32 v[2:3], v[4:5], v[2:3], v[6:7] op_sel_hi:[1,0,1]
	global_store_dwordx2 v[0:1], v[2:3], off
                                        ; implicit-def: $vgpr0_vgpr1
.LBB66_4:
	s_andn2_saveexec_b64 s[0:1], s[0:1]
	s_cbranch_execz .LBB66_6
; %bb.5:
	v_mov_b32_e32 v2, 0
	v_mov_b32_e32 v3, v2
	global_store_dwordx2 v[0:1], v[2:3], off
.LBB66_6:
	s_endpgm
	.section	.rodata,"a",@progbits
	.p2align	6, 0x0
	.amdhsa_kernel _ZN9rocsparseL15scale_2d_kernelILj256Ei21rocsparse_complex_numIfEEEvT0_S3_llNS_24const_host_device_scalarIT1_EEPS5_16rocsparse_order_b
		.amdhsa_group_segment_fixed_size 0
		.amdhsa_private_segment_fixed_size 0
		.amdhsa_kernarg_size 48
		.amdhsa_user_sgpr_count 2
		.amdhsa_user_sgpr_dispatch_ptr 0
		.amdhsa_user_sgpr_queue_ptr 0
		.amdhsa_user_sgpr_kernarg_segment_ptr 1
		.amdhsa_user_sgpr_dispatch_id 0
		.amdhsa_user_sgpr_kernarg_preload_length 0
		.amdhsa_user_sgpr_kernarg_preload_offset 0
		.amdhsa_user_sgpr_private_segment_size 0
		.amdhsa_uses_dynamic_stack 0
		.amdhsa_enable_private_segment 0
		.amdhsa_system_sgpr_workgroup_id_x 1
		.amdhsa_system_sgpr_workgroup_id_y 1
		.amdhsa_system_sgpr_workgroup_id_z 0
		.amdhsa_system_sgpr_workgroup_info 0
		.amdhsa_system_vgpr_workitem_id 0
		.amdhsa_next_free_vgpr 10
		.amdhsa_next_free_sgpr 11
		.amdhsa_accum_offset 12
		.amdhsa_reserve_vcc 1
		.amdhsa_float_round_mode_32 0
		.amdhsa_float_round_mode_16_64 0
		.amdhsa_float_denorm_mode_32 3
		.amdhsa_float_denorm_mode_16_64 3
		.amdhsa_dx10_clamp 1
		.amdhsa_ieee_mode 1
		.amdhsa_fp16_overflow 0
		.amdhsa_tg_split 0
		.amdhsa_exception_fp_ieee_invalid_op 0
		.amdhsa_exception_fp_denorm_src 0
		.amdhsa_exception_fp_ieee_div_zero 0
		.amdhsa_exception_fp_ieee_overflow 0
		.amdhsa_exception_fp_ieee_underflow 0
		.amdhsa_exception_fp_ieee_inexact 0
		.amdhsa_exception_int_div_zero 0
	.end_amdhsa_kernel
	.section	.text._ZN9rocsparseL15scale_2d_kernelILj256Ei21rocsparse_complex_numIfEEEvT0_S3_llNS_24const_host_device_scalarIT1_EEPS5_16rocsparse_order_b,"axG",@progbits,_ZN9rocsparseL15scale_2d_kernelILj256Ei21rocsparse_complex_numIfEEEvT0_S3_llNS_24const_host_device_scalarIT1_EEPS5_16rocsparse_order_b,comdat
.Lfunc_end66:
	.size	_ZN9rocsparseL15scale_2d_kernelILj256Ei21rocsparse_complex_numIfEEEvT0_S3_llNS_24const_host_device_scalarIT1_EEPS5_16rocsparse_order_b, .Lfunc_end66-_ZN9rocsparseL15scale_2d_kernelILj256Ei21rocsparse_complex_numIfEEEvT0_S3_llNS_24const_host_device_scalarIT1_EEPS5_16rocsparse_order_b
                                        ; -- End function
	.set _ZN9rocsparseL15scale_2d_kernelILj256Ei21rocsparse_complex_numIfEEEvT0_S3_llNS_24const_host_device_scalarIT1_EEPS5_16rocsparse_order_b.num_vgpr, 10
	.set _ZN9rocsparseL15scale_2d_kernelILj256Ei21rocsparse_complex_numIfEEEvT0_S3_llNS_24const_host_device_scalarIT1_EEPS5_16rocsparse_order_b.num_agpr, 0
	.set _ZN9rocsparseL15scale_2d_kernelILj256Ei21rocsparse_complex_numIfEEEvT0_S3_llNS_24const_host_device_scalarIT1_EEPS5_16rocsparse_order_b.numbered_sgpr, 11
	.set _ZN9rocsparseL15scale_2d_kernelILj256Ei21rocsparse_complex_numIfEEEvT0_S3_llNS_24const_host_device_scalarIT1_EEPS5_16rocsparse_order_b.num_named_barrier, 0
	.set _ZN9rocsparseL15scale_2d_kernelILj256Ei21rocsparse_complex_numIfEEEvT0_S3_llNS_24const_host_device_scalarIT1_EEPS5_16rocsparse_order_b.private_seg_size, 0
	.set _ZN9rocsparseL15scale_2d_kernelILj256Ei21rocsparse_complex_numIfEEEvT0_S3_llNS_24const_host_device_scalarIT1_EEPS5_16rocsparse_order_b.uses_vcc, 1
	.set _ZN9rocsparseL15scale_2d_kernelILj256Ei21rocsparse_complex_numIfEEEvT0_S3_llNS_24const_host_device_scalarIT1_EEPS5_16rocsparse_order_b.uses_flat_scratch, 0
	.set _ZN9rocsparseL15scale_2d_kernelILj256Ei21rocsparse_complex_numIfEEEvT0_S3_llNS_24const_host_device_scalarIT1_EEPS5_16rocsparse_order_b.has_dyn_sized_stack, 0
	.set _ZN9rocsparseL15scale_2d_kernelILj256Ei21rocsparse_complex_numIfEEEvT0_S3_llNS_24const_host_device_scalarIT1_EEPS5_16rocsparse_order_b.has_recursion, 0
	.set _ZN9rocsparseL15scale_2d_kernelILj256Ei21rocsparse_complex_numIfEEEvT0_S3_llNS_24const_host_device_scalarIT1_EEPS5_16rocsparse_order_b.has_indirect_call, 0
	.section	.AMDGPU.csdata,"",@progbits
; Kernel info:
; codeLenInByte = 488
; TotalNumSgprs: 17
; NumVgprs: 10
; NumAgprs: 0
; TotalNumVgprs: 10
; ScratchSize: 0
; MemoryBound: 0
; FloatMode: 240
; IeeeMode: 1
; LDSByteSize: 0 bytes/workgroup (compile time only)
; SGPRBlocks: 2
; VGPRBlocks: 1
; NumSGPRsForWavesPerEU: 17
; NumVGPRsForWavesPerEU: 10
; AccumOffset: 12
; Occupancy: 8
; WaveLimiterHint : 0
; COMPUTE_PGM_RSRC2:SCRATCH_EN: 0
; COMPUTE_PGM_RSRC2:USER_SGPR: 2
; COMPUTE_PGM_RSRC2:TRAP_HANDLER: 0
; COMPUTE_PGM_RSRC2:TGID_X_EN: 1
; COMPUTE_PGM_RSRC2:TGID_Y_EN: 1
; COMPUTE_PGM_RSRC2:TGID_Z_EN: 0
; COMPUTE_PGM_RSRC2:TIDIG_COMP_CNT: 0
; COMPUTE_PGM_RSRC3_GFX90A:ACCUM_OFFSET: 2
; COMPUTE_PGM_RSRC3_GFX90A:TG_SPLIT: 0
	.section	.text._ZN9rocsparseL15scale_2d_kernelILj256Ei21rocsparse_complex_numIdEEEvT0_S3_llNS_24const_host_device_scalarIT1_EEPS5_16rocsparse_order_b,"axG",@progbits,_ZN9rocsparseL15scale_2d_kernelILj256Ei21rocsparse_complex_numIdEEEvT0_S3_llNS_24const_host_device_scalarIT1_EEPS5_16rocsparse_order_b,comdat
	.globl	_ZN9rocsparseL15scale_2d_kernelILj256Ei21rocsparse_complex_numIdEEEvT0_S3_llNS_24const_host_device_scalarIT1_EEPS5_16rocsparse_order_b ; -- Begin function _ZN9rocsparseL15scale_2d_kernelILj256Ei21rocsparse_complex_numIdEEEvT0_S3_llNS_24const_host_device_scalarIT1_EEPS5_16rocsparse_order_b
	.p2align	8
	.type	_ZN9rocsparseL15scale_2d_kernelILj256Ei21rocsparse_complex_numIdEEEvT0_S3_llNS_24const_host_device_scalarIT1_EEPS5_16rocsparse_order_b,@function
_ZN9rocsparseL15scale_2d_kernelILj256Ei21rocsparse_complex_numIdEEEvT0_S3_llNS_24const_host_device_scalarIT1_EEPS5_16rocsparse_order_b: ; @_ZN9rocsparseL15scale_2d_kernelILj256Ei21rocsparse_complex_numIdEEEvT0_S3_llNS_24const_host_device_scalarIT1_EEPS5_16rocsparse_order_b
; %bb.0:
	s_load_dwordx2 s[6:7], s[0:1], 0x30
	s_load_dwordx2 s[4:5], s[0:1], 0x18
	s_add_u32 s8, s0, 24
	s_addc_u32 s9, s1, 0
	s_waitcnt lgkmcnt(0)
	s_bitcmp1_b32 s7, 0
	s_cselect_b32 s5, s9, s5
	s_cselect_b32 s4, s8, s4
	v_mov_b32_e32 v2, s4
	v_mov_b32_e32 v3, s5
	flat_load_dwordx4 v[2:5], v[2:3]
	s_waitcnt vmcnt(0) lgkmcnt(0)
	v_cmp_neq_f64_e32 vcc, 1.0, v[2:3]
	v_cmp_neq_f64_e64 s[4:5], 0, v[4:5]
	s_or_b64 s[4:5], vcc, s[4:5]
	s_and_saveexec_b64 s[8:9], s[4:5]
	s_cbranch_execz .LBB67_5
; %bb.1:
	s_load_dwordx2 s[4:5], s[0:1], 0x0
	v_lshl_or_b32 v0, s2, 8, v0
	s_waitcnt lgkmcnt(0)
	s_mul_i32 s2, s5, s4
	v_cmp_gt_i32_e32 vcc, s2, v0
	s_and_b64 exec, exec, vcc
	s_cbranch_execz .LBB67_5
; %bb.2:
	s_cmp_eq_u32 s6, 1
	s_cselect_b32 s2, s4, s5
	s_abs_i32 s10, s2
	v_cvt_f32_u32_e32 v1, s10
	s_load_dwordx4 s[4:7], s[0:1], 0x8
	s_load_dwordx2 s[8:9], s[0:1], 0x28
	s_sub_i32 s0, 0, s10
	v_sub_u32_e32 v6, 0, v0
	v_rcp_iflag_f32_e32 v1, v1
	v_max_i32_e32 v6, v0, v6
	v_xor_b32_e32 v7, s2, v0
	v_ashrrev_i32_e32 v7, 31, v7
	v_mul_f32_e32 v1, 0x4f7ffffe, v1
	v_cvt_u32_f32_e32 v1, v1
	v_mul_lo_u32 v8, s0, v1
	v_mul_hi_u32 v8, v1, v8
	v_add_u32_e32 v1, v1, v8
	v_mul_hi_u32 v1, v6, v1
	v_mul_lo_u32 v8, v1, s10
	v_sub_u32_e32 v6, v6, v8
	v_add_u32_e32 v9, 1, v1
	v_cmp_le_u32_e32 vcc, s10, v6
	v_subrev_u32_e32 v8, s10, v6
	v_cmp_neq_f64_e64 s[0:1], 0, v[4:5]
	v_cndmask_b32_e32 v1, v1, v9, vcc
	v_cndmask_b32_e32 v6, v6, v8, vcc
	v_add_u32_e32 v8, 1, v1
	v_cmp_le_u32_e32 vcc, s10, v6
	s_nop 1
	v_cndmask_b32_e32 v1, v1, v8, vcc
	v_xor_b32_e32 v1, v1, v7
	v_sub_u32_e32 v8, v1, v7
	v_cmp_neq_f64_e32 vcc, 0, v[2:3]
	v_ashrrev_i32_e32 v9, 31, v8
	v_mul_lo_u32 v1, v8, s2
	s_or_b64 s[10:11], vcc, s[0:1]
	s_waitcnt lgkmcnt(0)
	v_mul_lo_u32 v10, s4, v9
	v_mul_lo_u32 v11, s5, v8
	v_mad_u64_u32 v[8:9], s[0:1], s4, v8, 0
	s_ashr_i32 s0, s3, 31
	v_sub_u32_e32 v0, v0, v1
	v_add3_u32 v9, v9, v10, v11
	s_mul_hi_u32 s1, s6, s3
	s_mul_i32 s0, s6, s0
	v_ashrrev_i32_e32 v1, 31, v0
	s_add_i32 s0, s1, s0
	s_mul_i32 s1, s7, s3
	v_lshl_add_u64 v[8:9], v[8:9], 4, s[8:9]
	s_add_i32 s1, s0, s1
	s_mul_i32 s0, s6, s3
	v_lshl_add_u64 v[0:1], v[0:1], 4, v[8:9]
	v_mov_b64_e32 v[6:7], 0
	v_lshl_add_u64 v[0:1], s[0:1], 4, v[0:1]
	v_mov_b64_e32 v[8:9], 0
	s_and_saveexec_b64 s[0:1], s[10:11]
	s_cbranch_execz .LBB67_4
; %bb.3:
	global_load_dwordx4 v[10:13], v[0:1], off
	s_waitcnt vmcnt(0)
	v_mul_f64 v[6:7], v[4:5], -v[12:13]
	v_mul_f64 v[8:9], v[4:5], v[10:11]
	v_fmac_f64_e32 v[6:7], v[10:11], v[2:3]
	v_fmac_f64_e32 v[8:9], v[12:13], v[2:3]
.LBB67_4:
	s_or_b64 exec, exec, s[0:1]
	global_store_dwordx4 v[0:1], v[6:9], off
.LBB67_5:
	s_endpgm
	.section	.rodata,"a",@progbits
	.p2align	6, 0x0
	.amdhsa_kernel _ZN9rocsparseL15scale_2d_kernelILj256Ei21rocsparse_complex_numIdEEEvT0_S3_llNS_24const_host_device_scalarIT1_EEPS5_16rocsparse_order_b
		.amdhsa_group_segment_fixed_size 0
		.amdhsa_private_segment_fixed_size 0
		.amdhsa_kernarg_size 56
		.amdhsa_user_sgpr_count 2
		.amdhsa_user_sgpr_dispatch_ptr 0
		.amdhsa_user_sgpr_queue_ptr 0
		.amdhsa_user_sgpr_kernarg_segment_ptr 1
		.amdhsa_user_sgpr_dispatch_id 0
		.amdhsa_user_sgpr_kernarg_preload_length 0
		.amdhsa_user_sgpr_kernarg_preload_offset 0
		.amdhsa_user_sgpr_private_segment_size 0
		.amdhsa_uses_dynamic_stack 0
		.amdhsa_enable_private_segment 0
		.amdhsa_system_sgpr_workgroup_id_x 1
		.amdhsa_system_sgpr_workgroup_id_y 1
		.amdhsa_system_sgpr_workgroup_id_z 0
		.amdhsa_system_sgpr_workgroup_info 0
		.amdhsa_system_vgpr_workitem_id 0
		.amdhsa_next_free_vgpr 14
		.amdhsa_next_free_sgpr 12
		.amdhsa_accum_offset 16
		.amdhsa_reserve_vcc 1
		.amdhsa_float_round_mode_32 0
		.amdhsa_float_round_mode_16_64 0
		.amdhsa_float_denorm_mode_32 3
		.amdhsa_float_denorm_mode_16_64 3
		.amdhsa_dx10_clamp 1
		.amdhsa_ieee_mode 1
		.amdhsa_fp16_overflow 0
		.amdhsa_tg_split 0
		.amdhsa_exception_fp_ieee_invalid_op 0
		.amdhsa_exception_fp_denorm_src 0
		.amdhsa_exception_fp_ieee_div_zero 0
		.amdhsa_exception_fp_ieee_overflow 0
		.amdhsa_exception_fp_ieee_underflow 0
		.amdhsa_exception_fp_ieee_inexact 0
		.amdhsa_exception_int_div_zero 0
	.end_amdhsa_kernel
	.section	.text._ZN9rocsparseL15scale_2d_kernelILj256Ei21rocsparse_complex_numIdEEEvT0_S3_llNS_24const_host_device_scalarIT1_EEPS5_16rocsparse_order_b,"axG",@progbits,_ZN9rocsparseL15scale_2d_kernelILj256Ei21rocsparse_complex_numIdEEEvT0_S3_llNS_24const_host_device_scalarIT1_EEPS5_16rocsparse_order_b,comdat
.Lfunc_end67:
	.size	_ZN9rocsparseL15scale_2d_kernelILj256Ei21rocsparse_complex_numIdEEEvT0_S3_llNS_24const_host_device_scalarIT1_EEPS5_16rocsparse_order_b, .Lfunc_end67-_ZN9rocsparseL15scale_2d_kernelILj256Ei21rocsparse_complex_numIdEEEvT0_S3_llNS_24const_host_device_scalarIT1_EEPS5_16rocsparse_order_b
                                        ; -- End function
	.set _ZN9rocsparseL15scale_2d_kernelILj256Ei21rocsparse_complex_numIdEEEvT0_S3_llNS_24const_host_device_scalarIT1_EEPS5_16rocsparse_order_b.num_vgpr, 14
	.set _ZN9rocsparseL15scale_2d_kernelILj256Ei21rocsparse_complex_numIdEEEvT0_S3_llNS_24const_host_device_scalarIT1_EEPS5_16rocsparse_order_b.num_agpr, 0
	.set _ZN9rocsparseL15scale_2d_kernelILj256Ei21rocsparse_complex_numIdEEEvT0_S3_llNS_24const_host_device_scalarIT1_EEPS5_16rocsparse_order_b.numbered_sgpr, 12
	.set _ZN9rocsparseL15scale_2d_kernelILj256Ei21rocsparse_complex_numIdEEEvT0_S3_llNS_24const_host_device_scalarIT1_EEPS5_16rocsparse_order_b.num_named_barrier, 0
	.set _ZN9rocsparseL15scale_2d_kernelILj256Ei21rocsparse_complex_numIdEEEvT0_S3_llNS_24const_host_device_scalarIT1_EEPS5_16rocsparse_order_b.private_seg_size, 0
	.set _ZN9rocsparseL15scale_2d_kernelILj256Ei21rocsparse_complex_numIdEEEvT0_S3_llNS_24const_host_device_scalarIT1_EEPS5_16rocsparse_order_b.uses_vcc, 1
	.set _ZN9rocsparseL15scale_2d_kernelILj256Ei21rocsparse_complex_numIdEEEvT0_S3_llNS_24const_host_device_scalarIT1_EEPS5_16rocsparse_order_b.uses_flat_scratch, 0
	.set _ZN9rocsparseL15scale_2d_kernelILj256Ei21rocsparse_complex_numIdEEEvT0_S3_llNS_24const_host_device_scalarIT1_EEPS5_16rocsparse_order_b.has_dyn_sized_stack, 0
	.set _ZN9rocsparseL15scale_2d_kernelILj256Ei21rocsparse_complex_numIdEEEvT0_S3_llNS_24const_host_device_scalarIT1_EEPS5_16rocsparse_order_b.has_recursion, 0
	.set _ZN9rocsparseL15scale_2d_kernelILj256Ei21rocsparse_complex_numIdEEEvT0_S3_llNS_24const_host_device_scalarIT1_EEPS5_16rocsparse_order_b.has_indirect_call, 0
	.section	.AMDGPU.csdata,"",@progbits
; Kernel info:
; codeLenInByte = 464
; TotalNumSgprs: 18
; NumVgprs: 14
; NumAgprs: 0
; TotalNumVgprs: 14
; ScratchSize: 0
; MemoryBound: 0
; FloatMode: 240
; IeeeMode: 1
; LDSByteSize: 0 bytes/workgroup (compile time only)
; SGPRBlocks: 2
; VGPRBlocks: 1
; NumSGPRsForWavesPerEU: 18
; NumVGPRsForWavesPerEU: 14
; AccumOffset: 16
; Occupancy: 8
; WaveLimiterHint : 0
; COMPUTE_PGM_RSRC2:SCRATCH_EN: 0
; COMPUTE_PGM_RSRC2:USER_SGPR: 2
; COMPUTE_PGM_RSRC2:TRAP_HANDLER: 0
; COMPUTE_PGM_RSRC2:TGID_X_EN: 1
; COMPUTE_PGM_RSRC2:TGID_Y_EN: 1
; COMPUTE_PGM_RSRC2:TGID_Z_EN: 0
; COMPUTE_PGM_RSRC2:TIDIG_COMP_CNT: 0
; COMPUTE_PGM_RSRC3_GFX90A:ACCUM_OFFSET: 3
; COMPUTE_PGM_RSRC3_GFX90A:TG_SPLIT: 0
	.section	.text._ZN9rocsparseL15scale_2d_kernelILj256ElDF16_EEvT0_S1_llNS_24const_host_device_scalarIT1_EEPS3_16rocsparse_order_b,"axG",@progbits,_ZN9rocsparseL15scale_2d_kernelILj256ElDF16_EEvT0_S1_llNS_24const_host_device_scalarIT1_EEPS3_16rocsparse_order_b,comdat
	.globl	_ZN9rocsparseL15scale_2d_kernelILj256ElDF16_EEvT0_S1_llNS_24const_host_device_scalarIT1_EEPS3_16rocsparse_order_b ; -- Begin function _ZN9rocsparseL15scale_2d_kernelILj256ElDF16_EEvT0_S1_llNS_24const_host_device_scalarIT1_EEPS3_16rocsparse_order_b
	.p2align	8
	.type	_ZN9rocsparseL15scale_2d_kernelILj256ElDF16_EEvT0_S1_llNS_24const_host_device_scalarIT1_EEPS3_16rocsparse_order_b,@function
_ZN9rocsparseL15scale_2d_kernelILj256ElDF16_EEvT0_S1_llNS_24const_host_device_scalarIT1_EEPS3_16rocsparse_order_b: ; @_ZN9rocsparseL15scale_2d_kernelILj256ElDF16_EEvT0_S1_llNS_24const_host_device_scalarIT1_EEPS3_16rocsparse_order_b
; %bb.0:
	s_load_dwordx2 s[14:15], s[0:1], 0x30
	s_load_dwordx2 s[4:5], s[0:1], 0x20
	s_waitcnt lgkmcnt(0)
	s_bitcmp1_b32 s15, 0
	s_cselect_b64 s[6:7], -1, 0
	s_and_b64 vcc, exec, s[6:7]
	v_mov_b32_e32 v4, s4
	s_cbranch_vccnz .LBB68_2
; %bb.1:
	v_mov_b32_e32 v1, 0
	global_load_ushort v4, v1, s[4:5]
.LBB68_2:
	s_waitcnt vmcnt(0)
	v_cmp_eq_f16_e32 vcc, 1.0, v4
	s_cbranch_vccnz .LBB68_10
; %bb.3:
	s_load_dwordx8 s[4:11], s[0:1], 0x0
	v_lshl_or_b32 v0, s2, 8, v0
	v_mov_b32_e32 v1, 0
	s_waitcnt lgkmcnt(0)
	s_mul_i32 s2, s6, s5
	s_mul_hi_u32 s12, s6, s4
	s_mul_i32 s13, s7, s4
	s_add_i32 s2, s12, s2
	s_add_i32 s13, s2, s13
	s_mul_i32 s12, s6, s4
	v_cmp_gt_i64_e32 vcc, s[12:13], v[0:1]
	s_and_saveexec_b64 s[12:13], vcc
	s_cbranch_execz .LBB68_10
; %bb.4:
	s_load_dwordx2 s[12:13], s[0:1], 0x28
	s_cmp_eq_u32 s14, 1
	s_cselect_b32 s5, s5, s7
	s_cselect_b32 s2, s4, s6
	s_mov_b32 s4, 0
	s_cmp_lg_u64 s[4:5], 0
	s_cbranch_scc0 .LBB68_11
; %bb.5:
	s_ashr_i32 s6, s5, 31
	s_add_u32 s0, s2, s6
	s_mov_b32 s7, s6
	s_addc_u32 s1, s5, s6
	s_xor_b64 s[16:17], s[0:1], s[6:7]
	v_cvt_f32_u32_e32 v2, s16
	v_cvt_f32_u32_e32 v3, s17
	s_sub_u32 s4, 0, s16
	s_subb_u32 s7, 0, s17
	v_lshl_add_u64 v[6:7], v[0:1], 0, 0
	v_fmamk_f32 v2, v3, 0x4f800000, v2
	v_rcp_f32_e32 v2, v2
	s_nop 0
	v_mul_f32_e32 v2, 0x5f7ffffc, v2
	v_mul_f32_e32 v3, 0x2f800000, v2
	v_trunc_f32_e32 v3, v3
	v_fmamk_f32 v2, v3, 0xcf800000, v2
	v_cvt_u32_f32_e32 v3, v3
	v_cvt_u32_f32_e32 v2, v2
	v_readfirstlane_b32 s18, v3
	v_readfirstlane_b32 s0, v2
	s_mul_i32 s1, s4, s18
	s_mul_hi_u32 s20, s4, s0
	s_mul_i32 s19, s7, s0
	s_add_i32 s1, s20, s1
	s_add_i32 s1, s1, s19
	s_mul_i32 s21, s4, s0
	s_mul_i32 s20, s0, s1
	s_mul_hi_u32 s22, s0, s21
	s_mul_hi_u32 s19, s0, s1
	s_add_u32 s20, s22, s20
	s_addc_u32 s19, 0, s19
	s_mul_hi_u32 s23, s18, s21
	s_mul_i32 s21, s18, s21
	s_add_u32 s20, s20, s21
	s_mul_hi_u32 s22, s18, s1
	s_addc_u32 s19, s19, s23
	s_addc_u32 s20, s22, 0
	s_mul_i32 s1, s18, s1
	s_add_u32 s1, s19, s1
	s_addc_u32 s19, 0, s20
	s_add_u32 s20, s0, s1
	s_cselect_b64 s[0:1], -1, 0
	s_cmp_lg_u64 s[0:1], 0
	s_addc_u32 s18, s18, s19
	s_mul_i32 s0, s4, s18
	s_mul_hi_u32 s1, s4, s20
	s_add_i32 s0, s1, s0
	s_mul_i32 s7, s7, s20
	s_add_i32 s0, s0, s7
	s_mul_i32 s4, s4, s20
	s_mul_hi_u32 s7, s18, s4
	s_mul_i32 s19, s18, s4
	s_mul_i32 s22, s20, s0
	s_mul_hi_u32 s4, s20, s4
	s_mul_hi_u32 s21, s20, s0
	s_add_u32 s4, s4, s22
	s_addc_u32 s21, 0, s21
	s_add_u32 s4, s4, s19
	s_mul_hi_u32 s1, s18, s0
	s_addc_u32 s4, s21, s7
	s_addc_u32 s1, s1, 0
	s_mul_i32 s0, s18, s0
	s_add_u32 s0, s4, s0
	s_addc_u32 s4, 0, s1
	s_add_u32 s7, s20, s0
	s_cselect_b64 s[0:1], -1, 0
	s_cmp_lg_u64 s[0:1], 0
	s_addc_u32 s4, s18, s4
	v_mov_b32_e32 v3, 0
	v_mad_u64_u32 v[8:9], s[0:1], v6, s4, 0
	v_mul_hi_u32 v2, v6, s7
	v_lshl_add_u64 v[8:9], v[2:3], 0, v[8:9]
	v_mad_u64_u32 v[12:13], s[0:1], v7, s7, 0
	v_add_co_u32_e32 v1, vcc, v8, v12
	v_mad_u64_u32 v[10:11], s[0:1], v7, s4, 0
	s_nop 0
	v_addc_co_u32_e32 v2, vcc, v9, v13, vcc
	s_nop 1
	v_addc_co_u32_e32 v11, vcc, 0, v11, vcc
	v_lshl_add_u64 v[2:3], v[2:3], 0, v[10:11]
	v_mul_lo_u32 v1, s17, v2
	v_mul_lo_u32 v5, s16, v3
	v_mad_u64_u32 v[8:9], s[0:1], s16, v2, 0
	v_add3_u32 v1, v9, v5, v1
	v_sub_u32_e32 v5, v7, v1
	v_mov_b32_e32 v9, s17
	v_sub_co_u32_e32 v6, vcc, v6, v8
	v_lshl_add_u64 v[10:11], v[2:3], 0, 1
	s_nop 0
	v_subb_co_u32_e64 v5, s[0:1], v5, v9, vcc
	v_subrev_co_u32_e64 v8, s[0:1], s16, v6
	v_subb_co_u32_e32 v1, vcc, v7, v1, vcc
	s_nop 0
	v_subbrev_co_u32_e64 v5, s[0:1], 0, v5, s[0:1]
	v_cmp_le_u32_e64 s[0:1], s17, v5
	v_cmp_le_u32_e32 vcc, s17, v1
	s_nop 0
	v_cndmask_b32_e64 v9, 0, -1, s[0:1]
	v_cmp_le_u32_e64 s[0:1], s16, v8
	v_cndmask_b32_e64 v7, 0, -1, vcc
	v_cmp_le_u32_e32 vcc, s16, v6
	v_cndmask_b32_e64 v8, 0, -1, s[0:1]
	v_cmp_eq_u32_e64 s[0:1], s17, v5
	v_cndmask_b32_e64 v6, 0, -1, vcc
	v_cmp_eq_u32_e32 vcc, s17, v1
	v_cndmask_b32_e64 v5, v9, v8, s[0:1]
	v_lshl_add_u64 v[8:9], v[2:3], 0, 2
	v_cmp_ne_u32_e64 s[0:1], 0, v5
	v_cndmask_b32_e32 v1, v7, v6, vcc
	v_cmp_ne_u32_e32 vcc, 0, v1
	v_cndmask_b32_e64 v5, v11, v9, s[0:1]
	s_nop 0
	v_cndmask_b32_e32 v1, v3, v5, vcc
	v_cndmask_b32_e64 v3, v10, v8, s[0:1]
	v_cndmask_b32_e32 v2, v2, v3, vcc
	v_xor_b32_e32 v2, s6, v2
	v_xor_b32_e32 v1, s6, v1
	v_mov_b32_e32 v3, s6
	v_subrev_co_u32_e32 v2, vcc, s6, v2
	s_nop 1
	v_subb_co_u32_e32 v3, vcc, v1, v3, vcc
	s_cbranch_execnz .LBB68_7
.LBB68_6:
	v_cvt_f32_u32_e32 v1, s2
	s_sub_i32 s0, 0, s2
	v_rcp_iflag_f32_e32 v1, v1
	s_nop 0
	v_mul_f32_e32 v1, 0x4f7ffffe, v1
	v_cvt_u32_f32_e32 v1, v1
	v_mul_lo_u32 v2, s0, v1
	v_mul_hi_u32 v2, v1, v2
	v_add_u32_e32 v1, v1, v2
	v_mul_hi_u32 v1, v0, v1
	v_mul_lo_u32 v2, v1, s2
	v_sub_u32_e32 v2, v0, v2
	v_add_u32_e32 v3, 1, v1
	v_subrev_u32_e32 v5, s2, v2
	v_cmp_le_u32_e32 vcc, s2, v2
	s_nop 1
	v_cndmask_b32_e32 v2, v2, v5, vcc
	v_cndmask_b32_e32 v1, v1, v3, vcc
	v_add_u32_e32 v3, 1, v1
	v_cmp_le_u32_e32 vcc, s2, v2
	s_nop 1
	v_cndmask_b32_e32 v2, v1, v3, vcc
	v_mov_b32_e32 v3, 0
.LBB68_7:
	v_mul_lo_u32 v1, v3, s2
	v_mul_lo_u32 v5, v2, s5
	v_mad_u64_u32 v[6:7], s[0:1], v2, s2, 0
	v_add3_u32 v1, v7, v5, v1
	v_sub_co_u32_e32 v0, vcc, v0, v6
	v_mul_lo_u32 v6, v3, s8
	s_nop 0
	v_subb_co_u32_e32 v1, vcc, 0, v1, vcc
	v_mul_lo_u32 v7, v2, s9
	v_mad_u64_u32 v[2:3], s[0:1], v2, s8, 0
	v_add3_u32 v3, v3, v7, v6
	s_mul_i32 s0, s11, s3
	s_mul_hi_u32 s1, s10, s3
	s_waitcnt lgkmcnt(0)
	v_lshl_add_u64 v[0:1], v[0:1], 1, s[12:13]
	v_cmp_eq_f16_e32 vcc, 0, v4
	s_add_i32 s1, s1, s0
	s_mul_i32 s0, s10, s3
	v_lshl_add_u64 v[0:1], v[2:3], 1, v[0:1]
	v_mov_b32_e32 v5, 0
	v_lshl_add_u64 v[0:1], s[0:1], 1, v[0:1]
	s_cbranch_vccnz .LBB68_9
; %bb.8:
	global_load_ushort v2, v[0:1], off
	s_waitcnt vmcnt(0)
	v_mul_f16_e32 v5, v4, v2
.LBB68_9:
	global_store_short v[0:1], v5, off
.LBB68_10:
	s_endpgm
.LBB68_11:
                                        ; implicit-def: $vgpr2_vgpr3
	s_branch .LBB68_6
	.section	.rodata,"a",@progbits
	.p2align	6, 0x0
	.amdhsa_kernel _ZN9rocsparseL15scale_2d_kernelILj256ElDF16_EEvT0_S1_llNS_24const_host_device_scalarIT1_EEPS3_16rocsparse_order_b
		.amdhsa_group_segment_fixed_size 0
		.amdhsa_private_segment_fixed_size 0
		.amdhsa_kernarg_size 56
		.amdhsa_user_sgpr_count 2
		.amdhsa_user_sgpr_dispatch_ptr 0
		.amdhsa_user_sgpr_queue_ptr 0
		.amdhsa_user_sgpr_kernarg_segment_ptr 1
		.amdhsa_user_sgpr_dispatch_id 0
		.amdhsa_user_sgpr_kernarg_preload_length 0
		.amdhsa_user_sgpr_kernarg_preload_offset 0
		.amdhsa_user_sgpr_private_segment_size 0
		.amdhsa_uses_dynamic_stack 0
		.amdhsa_enable_private_segment 0
		.amdhsa_system_sgpr_workgroup_id_x 1
		.amdhsa_system_sgpr_workgroup_id_y 1
		.amdhsa_system_sgpr_workgroup_id_z 0
		.amdhsa_system_sgpr_workgroup_info 0
		.amdhsa_system_vgpr_workitem_id 0
		.amdhsa_next_free_vgpr 14
		.amdhsa_next_free_sgpr 24
		.amdhsa_accum_offset 16
		.amdhsa_reserve_vcc 1
		.amdhsa_float_round_mode_32 0
		.amdhsa_float_round_mode_16_64 0
		.amdhsa_float_denorm_mode_32 3
		.amdhsa_float_denorm_mode_16_64 3
		.amdhsa_dx10_clamp 1
		.amdhsa_ieee_mode 1
		.amdhsa_fp16_overflow 0
		.amdhsa_tg_split 0
		.amdhsa_exception_fp_ieee_invalid_op 0
		.amdhsa_exception_fp_denorm_src 0
		.amdhsa_exception_fp_ieee_div_zero 0
		.amdhsa_exception_fp_ieee_overflow 0
		.amdhsa_exception_fp_ieee_underflow 0
		.amdhsa_exception_fp_ieee_inexact 0
		.amdhsa_exception_int_div_zero 0
	.end_amdhsa_kernel
	.section	.text._ZN9rocsparseL15scale_2d_kernelILj256ElDF16_EEvT0_S1_llNS_24const_host_device_scalarIT1_EEPS3_16rocsparse_order_b,"axG",@progbits,_ZN9rocsparseL15scale_2d_kernelILj256ElDF16_EEvT0_S1_llNS_24const_host_device_scalarIT1_EEPS3_16rocsparse_order_b,comdat
.Lfunc_end68:
	.size	_ZN9rocsparseL15scale_2d_kernelILj256ElDF16_EEvT0_S1_llNS_24const_host_device_scalarIT1_EEPS3_16rocsparse_order_b, .Lfunc_end68-_ZN9rocsparseL15scale_2d_kernelILj256ElDF16_EEvT0_S1_llNS_24const_host_device_scalarIT1_EEPS3_16rocsparse_order_b
                                        ; -- End function
	.set _ZN9rocsparseL15scale_2d_kernelILj256ElDF16_EEvT0_S1_llNS_24const_host_device_scalarIT1_EEPS3_16rocsparse_order_b.num_vgpr, 14
	.set _ZN9rocsparseL15scale_2d_kernelILj256ElDF16_EEvT0_S1_llNS_24const_host_device_scalarIT1_EEPS3_16rocsparse_order_b.num_agpr, 0
	.set _ZN9rocsparseL15scale_2d_kernelILj256ElDF16_EEvT0_S1_llNS_24const_host_device_scalarIT1_EEPS3_16rocsparse_order_b.numbered_sgpr, 24
	.set _ZN9rocsparseL15scale_2d_kernelILj256ElDF16_EEvT0_S1_llNS_24const_host_device_scalarIT1_EEPS3_16rocsparse_order_b.num_named_barrier, 0
	.set _ZN9rocsparseL15scale_2d_kernelILj256ElDF16_EEvT0_S1_llNS_24const_host_device_scalarIT1_EEPS3_16rocsparse_order_b.private_seg_size, 0
	.set _ZN9rocsparseL15scale_2d_kernelILj256ElDF16_EEvT0_S1_llNS_24const_host_device_scalarIT1_EEPS3_16rocsparse_order_b.uses_vcc, 1
	.set _ZN9rocsparseL15scale_2d_kernelILj256ElDF16_EEvT0_S1_llNS_24const_host_device_scalarIT1_EEPS3_16rocsparse_order_b.uses_flat_scratch, 0
	.set _ZN9rocsparseL15scale_2d_kernelILj256ElDF16_EEvT0_S1_llNS_24const_host_device_scalarIT1_EEPS3_16rocsparse_order_b.has_dyn_sized_stack, 0
	.set _ZN9rocsparseL15scale_2d_kernelILj256ElDF16_EEvT0_S1_llNS_24const_host_device_scalarIT1_EEPS3_16rocsparse_order_b.has_recursion, 0
	.set _ZN9rocsparseL15scale_2d_kernelILj256ElDF16_EEvT0_S1_llNS_24const_host_device_scalarIT1_EEPS3_16rocsparse_order_b.has_indirect_call, 0
	.section	.AMDGPU.csdata,"",@progbits
; Kernel info:
; codeLenInByte = 1048
; TotalNumSgprs: 30
; NumVgprs: 14
; NumAgprs: 0
; TotalNumVgprs: 14
; ScratchSize: 0
; MemoryBound: 0
; FloatMode: 240
; IeeeMode: 1
; LDSByteSize: 0 bytes/workgroup (compile time only)
; SGPRBlocks: 3
; VGPRBlocks: 1
; NumSGPRsForWavesPerEU: 30
; NumVGPRsForWavesPerEU: 14
; AccumOffset: 16
; Occupancy: 8
; WaveLimiterHint : 0
; COMPUTE_PGM_RSRC2:SCRATCH_EN: 0
; COMPUTE_PGM_RSRC2:USER_SGPR: 2
; COMPUTE_PGM_RSRC2:TRAP_HANDLER: 0
; COMPUTE_PGM_RSRC2:TGID_X_EN: 1
; COMPUTE_PGM_RSRC2:TGID_Y_EN: 1
; COMPUTE_PGM_RSRC2:TGID_Z_EN: 0
; COMPUTE_PGM_RSRC2:TIDIG_COMP_CNT: 0
; COMPUTE_PGM_RSRC3_GFX90A:ACCUM_OFFSET: 3
; COMPUTE_PGM_RSRC3_GFX90A:TG_SPLIT: 0
	.section	.text._ZN9rocsparseL15scale_2d_kernelILj256EliEEvT0_S1_llNS_24const_host_device_scalarIT1_EEPS3_16rocsparse_order_b,"axG",@progbits,_ZN9rocsparseL15scale_2d_kernelILj256EliEEvT0_S1_llNS_24const_host_device_scalarIT1_EEPS3_16rocsparse_order_b,comdat
	.globl	_ZN9rocsparseL15scale_2d_kernelILj256EliEEvT0_S1_llNS_24const_host_device_scalarIT1_EEPS3_16rocsparse_order_b ; -- Begin function _ZN9rocsparseL15scale_2d_kernelILj256EliEEvT0_S1_llNS_24const_host_device_scalarIT1_EEPS3_16rocsparse_order_b
	.p2align	8
	.type	_ZN9rocsparseL15scale_2d_kernelILj256EliEEvT0_S1_llNS_24const_host_device_scalarIT1_EEPS3_16rocsparse_order_b,@function
_ZN9rocsparseL15scale_2d_kernelILj256EliEEvT0_S1_llNS_24const_host_device_scalarIT1_EEPS3_16rocsparse_order_b: ; @_ZN9rocsparseL15scale_2d_kernelILj256EliEEvT0_S1_llNS_24const_host_device_scalarIT1_EEPS3_16rocsparse_order_b
; %bb.0:
	s_load_dwordx2 s[14:15], s[0:1], 0x30
	s_load_dwordx2 s[4:5], s[0:1], 0x20
	s_waitcnt lgkmcnt(0)
	s_bitcmp0_b32 s15, 0
	s_cbranch_scc0 .LBB69_2
; %bb.1:
	s_load_dword s18, s[4:5], 0x0
	s_cbranch_execz .LBB69_3
	s_branch .LBB69_4
.LBB69_2:
                                        ; implicit-def: $sgpr18
.LBB69_3:
	s_waitcnt lgkmcnt(0)
	s_mov_b32 s18, s4
.LBB69_4:
	s_waitcnt lgkmcnt(0)
	s_cmp_eq_u32 s18, 1
	s_cbranch_scc1 .LBB69_14
; %bb.5:
	s_load_dwordx8 s[4:11], s[0:1], 0x0
	v_lshl_or_b32 v0, s2, 8, v0
	v_mov_b32_e32 v1, 0
	s_waitcnt lgkmcnt(0)
	s_mul_i32 s2, s6, s5
	s_mul_hi_u32 s12, s6, s4
	s_mul_i32 s13, s7, s4
	s_add_i32 s2, s12, s2
	s_add_i32 s13, s2, s13
	s_mul_i32 s12, s6, s4
	v_cmp_gt_i64_e32 vcc, s[12:13], v[0:1]
	s_and_saveexec_b64 s[12:13], vcc
	s_cbranch_execz .LBB69_14
; %bb.6:
	s_load_dwordx2 s[12:13], s[0:1], 0x28
	s_cmp_eq_u32 s14, 1
	s_cselect_b32 s5, s5, s7
	s_cselect_b32 s2, s4, s6
	s_mov_b32 s4, 0
	s_cmp_lg_u64 s[4:5], 0
	s_cbranch_scc0 .LBB69_11
; %bb.7:
	s_ashr_i32 s6, s5, 31
	s_add_u32 s0, s2, s6
	s_mov_b32 s7, s6
	s_addc_u32 s1, s5, s6
	s_xor_b64 s[16:17], s[0:1], s[6:7]
	v_cvt_f32_u32_e32 v2, s16
	v_cvt_f32_u32_e32 v3, s17
	s_sub_u32 s4, 0, s16
	s_subb_u32 s7, 0, s17
	v_lshl_add_u64 v[4:5], v[0:1], 0, 0
	v_fmamk_f32 v2, v3, 0x4f800000, v2
	v_rcp_f32_e32 v2, v2
	s_nop 0
	v_mul_f32_e32 v2, 0x5f7ffffc, v2
	v_mul_f32_e32 v3, 0x2f800000, v2
	v_trunc_f32_e32 v3, v3
	v_fmamk_f32 v2, v3, 0xcf800000, v2
	v_cvt_u32_f32_e32 v3, v3
	v_cvt_u32_f32_e32 v2, v2
	v_readfirstlane_b32 s19, v3
	v_readfirstlane_b32 s0, v2
	s_mul_i32 s1, s4, s19
	s_mul_hi_u32 s21, s4, s0
	s_mul_i32 s20, s7, s0
	s_add_i32 s1, s21, s1
	s_add_i32 s1, s1, s20
	s_mul_i32 s22, s4, s0
	s_mul_i32 s21, s0, s1
	s_mul_hi_u32 s23, s0, s22
	s_mul_hi_u32 s20, s0, s1
	s_add_u32 s21, s23, s21
	s_addc_u32 s20, 0, s20
	s_mul_hi_u32 s24, s19, s22
	s_mul_i32 s22, s19, s22
	s_add_u32 s21, s21, s22
	s_mul_hi_u32 s23, s19, s1
	s_addc_u32 s20, s20, s24
	s_addc_u32 s21, s23, 0
	s_mul_i32 s1, s19, s1
	s_add_u32 s1, s20, s1
	s_addc_u32 s20, 0, s21
	s_add_u32 s21, s0, s1
	s_cselect_b64 s[0:1], -1, 0
	s_cmp_lg_u64 s[0:1], 0
	s_addc_u32 s19, s19, s20
	s_mul_i32 s0, s4, s19
	s_mul_hi_u32 s1, s4, s21
	s_add_i32 s0, s1, s0
	s_mul_i32 s7, s7, s21
	s_add_i32 s0, s0, s7
	s_mul_i32 s4, s4, s21
	s_mul_hi_u32 s7, s19, s4
	s_mul_i32 s20, s19, s4
	s_mul_i32 s23, s21, s0
	s_mul_hi_u32 s4, s21, s4
	s_mul_hi_u32 s22, s21, s0
	s_add_u32 s4, s4, s23
	s_addc_u32 s22, 0, s22
	s_add_u32 s4, s4, s20
	s_mul_hi_u32 s1, s19, s0
	s_addc_u32 s4, s22, s7
	s_addc_u32 s1, s1, 0
	s_mul_i32 s0, s19, s0
	s_add_u32 s0, s4, s0
	s_addc_u32 s4, 0, s1
	s_add_u32 s7, s21, s0
	s_cselect_b64 s[0:1], -1, 0
	s_cmp_lg_u64 s[0:1], 0
	s_addc_u32 s4, s19, s4
	v_mov_b32_e32 v3, 0
	v_mad_u64_u32 v[6:7], s[0:1], v4, s4, 0
	v_mul_hi_u32 v2, v4, s7
	v_lshl_add_u64 v[6:7], v[2:3], 0, v[6:7]
	v_mad_u64_u32 v[10:11], s[0:1], v5, s7, 0
	v_add_co_u32_e32 v1, vcc, v6, v10
	v_mad_u64_u32 v[8:9], s[0:1], v5, s4, 0
	s_nop 0
	v_addc_co_u32_e32 v2, vcc, v7, v11, vcc
	s_nop 1
	v_addc_co_u32_e32 v9, vcc, 0, v9, vcc
	v_lshl_add_u64 v[2:3], v[2:3], 0, v[8:9]
	v_mul_lo_u32 v1, s17, v2
	v_mul_lo_u32 v8, s16, v3
	v_mad_u64_u32 v[6:7], s[0:1], s16, v2, 0
	v_add3_u32 v1, v7, v8, v1
	v_sub_u32_e32 v7, v5, v1
	v_mov_b32_e32 v8, s17
	v_sub_co_u32_e32 v4, vcc, v4, v6
	s_nop 1
	v_subb_co_u32_e64 v6, s[0:1], v7, v8, vcc
	v_subrev_co_u32_e64 v7, s[0:1], s16, v4
	v_subb_co_u32_e32 v1, vcc, v5, v1, vcc
	s_nop 0
	v_subbrev_co_u32_e64 v6, s[0:1], 0, v6, s[0:1]
	v_cmp_le_u32_e64 s[0:1], s17, v6
	v_cmp_le_u32_e32 vcc, s17, v1
	s_nop 0
	v_cndmask_b32_e64 v8, 0, -1, s[0:1]
	v_cmp_le_u32_e64 s[0:1], s16, v7
	v_cndmask_b32_e64 v5, 0, -1, vcc
	v_cmp_le_u32_e32 vcc, s16, v4
	v_cndmask_b32_e64 v7, 0, -1, s[0:1]
	v_cmp_eq_u32_e64 s[0:1], s17, v6
	v_cndmask_b32_e64 v4, 0, -1, vcc
	v_cmp_eq_u32_e32 vcc, s17, v1
	v_cndmask_b32_e64 v10, v8, v7, s[0:1]
	v_lshl_add_u64 v[6:7], v[2:3], 0, 2
	v_lshl_add_u64 v[8:9], v[2:3], 0, 1
	v_cmp_ne_u32_e64 s[0:1], 0, v10
	v_cndmask_b32_e32 v1, v5, v4, vcc
	v_cmp_ne_u32_e32 vcc, 0, v1
	v_cndmask_b32_e64 v7, v9, v7, s[0:1]
	s_nop 0
	v_cndmask_b32_e32 v1, v3, v7, vcc
	v_cndmask_b32_e64 v3, v8, v6, s[0:1]
	v_cndmask_b32_e32 v2, v2, v3, vcc
	v_xor_b32_e32 v2, s6, v2
	v_xor_b32_e32 v1, s6, v1
	v_mov_b32_e32 v3, s6
	v_subrev_co_u32_e32 v2, vcc, s6, v2
	s_nop 1
	v_subb_co_u32_e32 v3, vcc, v1, v3, vcc
	s_cbranch_execnz .LBB69_9
.LBB69_8:
	v_cvt_f32_u32_e32 v1, s2
	s_sub_i32 s0, 0, s2
	v_rcp_iflag_f32_e32 v1, v1
	s_nop 0
	v_mul_f32_e32 v1, 0x4f7ffffe, v1
	v_cvt_u32_f32_e32 v1, v1
	v_mul_lo_u32 v2, s0, v1
	v_mul_hi_u32 v2, v1, v2
	v_add_u32_e32 v1, v1, v2
	v_mul_hi_u32 v1, v0, v1
	v_mul_lo_u32 v2, v1, s2
	v_sub_u32_e32 v2, v0, v2
	v_add_u32_e32 v3, 1, v1
	v_subrev_u32_e32 v4, s2, v2
	v_cmp_le_u32_e32 vcc, s2, v2
	s_nop 1
	v_cndmask_b32_e32 v2, v2, v4, vcc
	v_cndmask_b32_e32 v1, v1, v3, vcc
	v_add_u32_e32 v3, 1, v1
	v_cmp_le_u32_e32 vcc, s2, v2
	s_nop 1
	v_cndmask_b32_e32 v2, v1, v3, vcc
	v_mov_b32_e32 v3, 0
.LBB69_9:
	v_mul_lo_u32 v1, v3, s2
	v_mul_lo_u32 v6, v2, s5
	v_mad_u64_u32 v[4:5], s[0:1], v2, s2, 0
	v_add3_u32 v1, v5, v6, v1
	v_sub_co_u32_e32 v0, vcc, v0, v4
	v_mul_lo_u32 v4, v3, s8
	s_nop 0
	v_subb_co_u32_e32 v1, vcc, 0, v1, vcc
	v_mul_lo_u32 v5, v2, s9
	v_mad_u64_u32 v[2:3], s[4:5], v2, s8, 0
	s_mul_i32 s0, s11, s3
	s_mul_hi_u32 s1, s10, s3
	v_add3_u32 v3, v3, v5, v4
	s_waitcnt lgkmcnt(0)
	v_lshl_add_u64 v[0:1], v[0:1], 2, s[12:13]
	s_add_i32 s1, s1, s0
	s_mul_i32 s0, s10, s3
	v_lshl_add_u64 v[0:1], v[2:3], 2, v[0:1]
	s_cmp_eq_u32 s18, 0
	v_lshl_add_u64 v[0:1], s[0:1], 2, v[0:1]
	s_cbranch_scc1 .LBB69_12
; %bb.10:
	global_load_dword v2, v[0:1], off
	s_waitcnt vmcnt(0)
	v_mul_lo_u32 v2, v2, s18
	s_branch .LBB69_13
.LBB69_11:
                                        ; implicit-def: $vgpr2_vgpr3
	s_branch .LBB69_8
.LBB69_12:
	v_mov_b32_e32 v2, 0
.LBB69_13:
	global_store_dword v[0:1], v2, off
.LBB69_14:
	s_endpgm
	.section	.rodata,"a",@progbits
	.p2align	6, 0x0
	.amdhsa_kernel _ZN9rocsparseL15scale_2d_kernelILj256EliEEvT0_S1_llNS_24const_host_device_scalarIT1_EEPS3_16rocsparse_order_b
		.amdhsa_group_segment_fixed_size 0
		.amdhsa_private_segment_fixed_size 0
		.amdhsa_kernarg_size 56
		.amdhsa_user_sgpr_count 2
		.amdhsa_user_sgpr_dispatch_ptr 0
		.amdhsa_user_sgpr_queue_ptr 0
		.amdhsa_user_sgpr_kernarg_segment_ptr 1
		.amdhsa_user_sgpr_dispatch_id 0
		.amdhsa_user_sgpr_kernarg_preload_length 0
		.amdhsa_user_sgpr_kernarg_preload_offset 0
		.amdhsa_user_sgpr_private_segment_size 0
		.amdhsa_uses_dynamic_stack 0
		.amdhsa_enable_private_segment 0
		.amdhsa_system_sgpr_workgroup_id_x 1
		.amdhsa_system_sgpr_workgroup_id_y 1
		.amdhsa_system_sgpr_workgroup_id_z 0
		.amdhsa_system_sgpr_workgroup_info 0
		.amdhsa_system_vgpr_workitem_id 0
		.amdhsa_next_free_vgpr 12
		.amdhsa_next_free_sgpr 25
		.amdhsa_accum_offset 12
		.amdhsa_reserve_vcc 1
		.amdhsa_float_round_mode_32 0
		.amdhsa_float_round_mode_16_64 0
		.amdhsa_float_denorm_mode_32 3
		.amdhsa_float_denorm_mode_16_64 3
		.amdhsa_dx10_clamp 1
		.amdhsa_ieee_mode 1
		.amdhsa_fp16_overflow 0
		.amdhsa_tg_split 0
		.amdhsa_exception_fp_ieee_invalid_op 0
		.amdhsa_exception_fp_denorm_src 0
		.amdhsa_exception_fp_ieee_div_zero 0
		.amdhsa_exception_fp_ieee_overflow 0
		.amdhsa_exception_fp_ieee_underflow 0
		.amdhsa_exception_fp_ieee_inexact 0
		.amdhsa_exception_int_div_zero 0
	.end_amdhsa_kernel
	.section	.text._ZN9rocsparseL15scale_2d_kernelILj256EliEEvT0_S1_llNS_24const_host_device_scalarIT1_EEPS3_16rocsparse_order_b,"axG",@progbits,_ZN9rocsparseL15scale_2d_kernelILj256EliEEvT0_S1_llNS_24const_host_device_scalarIT1_EEPS3_16rocsparse_order_b,comdat
.Lfunc_end69:
	.size	_ZN9rocsparseL15scale_2d_kernelILj256EliEEvT0_S1_llNS_24const_host_device_scalarIT1_EEPS3_16rocsparse_order_b, .Lfunc_end69-_ZN9rocsparseL15scale_2d_kernelILj256EliEEvT0_S1_llNS_24const_host_device_scalarIT1_EEPS3_16rocsparse_order_b
                                        ; -- End function
	.set _ZN9rocsparseL15scale_2d_kernelILj256EliEEvT0_S1_llNS_24const_host_device_scalarIT1_EEPS3_16rocsparse_order_b.num_vgpr, 12
	.set _ZN9rocsparseL15scale_2d_kernelILj256EliEEvT0_S1_llNS_24const_host_device_scalarIT1_EEPS3_16rocsparse_order_b.num_agpr, 0
	.set _ZN9rocsparseL15scale_2d_kernelILj256EliEEvT0_S1_llNS_24const_host_device_scalarIT1_EEPS3_16rocsparse_order_b.numbered_sgpr, 25
	.set _ZN9rocsparseL15scale_2d_kernelILj256EliEEvT0_S1_llNS_24const_host_device_scalarIT1_EEPS3_16rocsparse_order_b.num_named_barrier, 0
	.set _ZN9rocsparseL15scale_2d_kernelILj256EliEEvT0_S1_llNS_24const_host_device_scalarIT1_EEPS3_16rocsparse_order_b.private_seg_size, 0
	.set _ZN9rocsparseL15scale_2d_kernelILj256EliEEvT0_S1_llNS_24const_host_device_scalarIT1_EEPS3_16rocsparse_order_b.uses_vcc, 1
	.set _ZN9rocsparseL15scale_2d_kernelILj256EliEEvT0_S1_llNS_24const_host_device_scalarIT1_EEPS3_16rocsparse_order_b.uses_flat_scratch, 0
	.set _ZN9rocsparseL15scale_2d_kernelILj256EliEEvT0_S1_llNS_24const_host_device_scalarIT1_EEPS3_16rocsparse_order_b.has_dyn_sized_stack, 0
	.set _ZN9rocsparseL15scale_2d_kernelILj256EliEEvT0_S1_llNS_24const_host_device_scalarIT1_EEPS3_16rocsparse_order_b.has_recursion, 0
	.set _ZN9rocsparseL15scale_2d_kernelILj256EliEEvT0_S1_llNS_24const_host_device_scalarIT1_EEPS3_16rocsparse_order_b.has_indirect_call, 0
	.section	.AMDGPU.csdata,"",@progbits
; Kernel info:
; codeLenInByte = 1056
; TotalNumSgprs: 31
; NumVgprs: 12
; NumAgprs: 0
; TotalNumVgprs: 12
; ScratchSize: 0
; MemoryBound: 0
; FloatMode: 240
; IeeeMode: 1
; LDSByteSize: 0 bytes/workgroup (compile time only)
; SGPRBlocks: 3
; VGPRBlocks: 1
; NumSGPRsForWavesPerEU: 31
; NumVGPRsForWavesPerEU: 12
; AccumOffset: 12
; Occupancy: 8
; WaveLimiterHint : 0
; COMPUTE_PGM_RSRC2:SCRATCH_EN: 0
; COMPUTE_PGM_RSRC2:USER_SGPR: 2
; COMPUTE_PGM_RSRC2:TRAP_HANDLER: 0
; COMPUTE_PGM_RSRC2:TGID_X_EN: 1
; COMPUTE_PGM_RSRC2:TGID_Y_EN: 1
; COMPUTE_PGM_RSRC2:TGID_Z_EN: 0
; COMPUTE_PGM_RSRC2:TIDIG_COMP_CNT: 0
; COMPUTE_PGM_RSRC3_GFX90A:ACCUM_OFFSET: 2
; COMPUTE_PGM_RSRC3_GFX90A:TG_SPLIT: 0
	.section	.text._ZN9rocsparseL15scale_2d_kernelILj256ElfEEvT0_S1_llNS_24const_host_device_scalarIT1_EEPS3_16rocsparse_order_b,"axG",@progbits,_ZN9rocsparseL15scale_2d_kernelILj256ElfEEvT0_S1_llNS_24const_host_device_scalarIT1_EEPS3_16rocsparse_order_b,comdat
	.globl	_ZN9rocsparseL15scale_2d_kernelILj256ElfEEvT0_S1_llNS_24const_host_device_scalarIT1_EEPS3_16rocsparse_order_b ; -- Begin function _ZN9rocsparseL15scale_2d_kernelILj256ElfEEvT0_S1_llNS_24const_host_device_scalarIT1_EEPS3_16rocsparse_order_b
	.p2align	8
	.type	_ZN9rocsparseL15scale_2d_kernelILj256ElfEEvT0_S1_llNS_24const_host_device_scalarIT1_EEPS3_16rocsparse_order_b,@function
_ZN9rocsparseL15scale_2d_kernelILj256ElfEEvT0_S1_llNS_24const_host_device_scalarIT1_EEPS3_16rocsparse_order_b: ; @_ZN9rocsparseL15scale_2d_kernelILj256ElfEEvT0_S1_llNS_24const_host_device_scalarIT1_EEPS3_16rocsparse_order_b
; %bb.0:
	s_load_dwordx2 s[16:17], s[0:1], 0x30
	s_load_dwordx2 s[12:13], s[0:1], 0x20
	s_waitcnt lgkmcnt(0)
	s_bitcmp1_b32 s17, 0
	s_cselect_b64 s[4:5], -1, 0
	s_and_b64 vcc, exec, s[4:5]
	s_cbranch_vccnz .LBB70_2
; %bb.1:
	s_load_dword s12, s[12:13], 0x0
.LBB70_2:
	s_waitcnt lgkmcnt(0)
	v_cmp_eq_f32_e64 s[4:5], s12, 1.0
	s_and_b64 vcc, exec, s[4:5]
	s_cbranch_vccnz .LBB70_10
; %bb.3:
	s_load_dwordx8 s[4:11], s[0:1], 0x0
	v_lshl_or_b32 v0, s2, 8, v0
	v_mov_b32_e32 v1, 0
	s_waitcnt lgkmcnt(0)
	s_mul_i32 s2, s6, s5
	s_mul_hi_u32 s13, s6, s4
	s_mul_i32 s14, s7, s4
	s_add_i32 s2, s13, s2
	s_add_i32 s15, s2, s14
	s_mul_i32 s14, s6, s4
	v_cmp_gt_i64_e32 vcc, s[14:15], v[0:1]
	s_and_saveexec_b64 s[14:15], vcc
	s_cbranch_execz .LBB70_10
; %bb.4:
	s_load_dwordx2 s[14:15], s[0:1], 0x28
	s_cmp_eq_u32 s16, 1
	s_cselect_b32 s5, s5, s7
	s_cselect_b32 s2, s4, s6
	s_mov_b32 s4, 0
	s_cmp_lg_u64 s[4:5], 0
	s_cbranch_scc0 .LBB70_11
; %bb.5:
	s_ashr_i32 s6, s5, 31
	s_add_u32 s0, s2, s6
	s_mov_b32 s7, s6
	s_addc_u32 s1, s5, s6
	s_xor_b64 s[18:19], s[0:1], s[6:7]
	v_cvt_f32_u32_e32 v2, s18
	v_cvt_f32_u32_e32 v3, s19
	s_sub_u32 s4, 0, s18
	s_subb_u32 s7, 0, s19
	v_lshl_add_u64 v[4:5], v[0:1], 0, 0
	v_fmamk_f32 v2, v3, 0x4f800000, v2
	v_rcp_f32_e32 v2, v2
	s_nop 0
	v_mul_f32_e32 v2, 0x5f7ffffc, v2
	v_mul_f32_e32 v3, 0x2f800000, v2
	v_trunc_f32_e32 v3, v3
	v_fmamk_f32 v2, v3, 0xcf800000, v2
	v_cvt_u32_f32_e32 v3, v3
	v_cvt_u32_f32_e32 v2, v2
	v_readfirstlane_b32 s13, v3
	v_readfirstlane_b32 s0, v2
	s_mul_i32 s1, s4, s13
	s_mul_hi_u32 s21, s4, s0
	s_mul_i32 s20, s7, s0
	s_add_i32 s1, s21, s1
	s_add_i32 s1, s1, s20
	s_mul_i32 s22, s4, s0
	s_mul_i32 s21, s0, s1
	s_mul_hi_u32 s23, s0, s22
	s_mul_hi_u32 s20, s0, s1
	s_add_u32 s21, s23, s21
	s_addc_u32 s20, 0, s20
	s_mul_hi_u32 s24, s13, s22
	s_mul_i32 s22, s13, s22
	s_add_u32 s21, s21, s22
	s_mul_hi_u32 s23, s13, s1
	s_addc_u32 s20, s20, s24
	s_addc_u32 s21, s23, 0
	s_mul_i32 s1, s13, s1
	s_add_u32 s1, s20, s1
	s_addc_u32 s20, 0, s21
	s_add_u32 s21, s0, s1
	s_cselect_b64 s[0:1], -1, 0
	s_cmp_lg_u64 s[0:1], 0
	s_addc_u32 s13, s13, s20
	s_mul_i32 s0, s4, s13
	s_mul_hi_u32 s1, s4, s21
	s_add_i32 s0, s1, s0
	s_mul_i32 s7, s7, s21
	s_add_i32 s0, s0, s7
	s_mul_i32 s4, s4, s21
	s_mul_hi_u32 s7, s13, s4
	s_mul_i32 s20, s13, s4
	s_mul_i32 s23, s21, s0
	s_mul_hi_u32 s4, s21, s4
	s_mul_hi_u32 s22, s21, s0
	s_add_u32 s4, s4, s23
	s_addc_u32 s22, 0, s22
	s_add_u32 s4, s4, s20
	s_mul_hi_u32 s1, s13, s0
	s_addc_u32 s4, s22, s7
	s_addc_u32 s1, s1, 0
	s_mul_i32 s0, s13, s0
	s_add_u32 s0, s4, s0
	s_addc_u32 s4, 0, s1
	s_add_u32 s7, s21, s0
	s_cselect_b64 s[0:1], -1, 0
	s_cmp_lg_u64 s[0:1], 0
	s_addc_u32 s4, s13, s4
	v_mov_b32_e32 v3, 0
	v_mad_u64_u32 v[6:7], s[0:1], v4, s4, 0
	v_mul_hi_u32 v2, v4, s7
	v_lshl_add_u64 v[6:7], v[2:3], 0, v[6:7]
	v_mad_u64_u32 v[10:11], s[0:1], v5, s7, 0
	v_add_co_u32_e32 v1, vcc, v6, v10
	v_mad_u64_u32 v[8:9], s[0:1], v5, s4, 0
	s_nop 0
	v_addc_co_u32_e32 v2, vcc, v7, v11, vcc
	s_nop 1
	v_addc_co_u32_e32 v9, vcc, 0, v9, vcc
	v_lshl_add_u64 v[2:3], v[2:3], 0, v[8:9]
	v_mul_lo_u32 v1, s19, v2
	v_mul_lo_u32 v8, s18, v3
	v_mad_u64_u32 v[6:7], s[0:1], s18, v2, 0
	v_add3_u32 v1, v7, v8, v1
	v_sub_u32_e32 v7, v5, v1
	v_mov_b32_e32 v8, s19
	v_sub_co_u32_e32 v4, vcc, v4, v6
	s_nop 1
	v_subb_co_u32_e64 v6, s[0:1], v7, v8, vcc
	v_subrev_co_u32_e64 v7, s[0:1], s18, v4
	v_subb_co_u32_e32 v1, vcc, v5, v1, vcc
	s_nop 0
	v_subbrev_co_u32_e64 v6, s[0:1], 0, v6, s[0:1]
	v_cmp_le_u32_e64 s[0:1], s19, v6
	v_cmp_le_u32_e32 vcc, s19, v1
	s_nop 0
	v_cndmask_b32_e64 v8, 0, -1, s[0:1]
	v_cmp_le_u32_e64 s[0:1], s18, v7
	v_cndmask_b32_e64 v5, 0, -1, vcc
	v_cmp_le_u32_e32 vcc, s18, v4
	v_cndmask_b32_e64 v7, 0, -1, s[0:1]
	v_cmp_eq_u32_e64 s[0:1], s19, v6
	v_cndmask_b32_e64 v4, 0, -1, vcc
	v_cmp_eq_u32_e32 vcc, s19, v1
	v_cndmask_b32_e64 v10, v8, v7, s[0:1]
	v_lshl_add_u64 v[6:7], v[2:3], 0, 2
	v_lshl_add_u64 v[8:9], v[2:3], 0, 1
	v_cmp_ne_u32_e64 s[0:1], 0, v10
	v_cndmask_b32_e32 v1, v5, v4, vcc
	v_cmp_ne_u32_e32 vcc, 0, v1
	v_cndmask_b32_e64 v7, v9, v7, s[0:1]
	s_nop 0
	v_cndmask_b32_e32 v1, v3, v7, vcc
	v_cndmask_b32_e64 v3, v8, v6, s[0:1]
	v_cndmask_b32_e32 v2, v2, v3, vcc
	v_xor_b32_e32 v2, s6, v2
	v_xor_b32_e32 v1, s6, v1
	v_mov_b32_e32 v3, s6
	v_subrev_co_u32_e32 v2, vcc, s6, v2
	s_nop 1
	v_subb_co_u32_e32 v3, vcc, v1, v3, vcc
	s_cbranch_execnz .LBB70_7
.LBB70_6:
	v_cvt_f32_u32_e32 v1, s2
	s_sub_i32 s0, 0, s2
	v_rcp_iflag_f32_e32 v1, v1
	s_nop 0
	v_mul_f32_e32 v1, 0x4f7ffffe, v1
	v_cvt_u32_f32_e32 v1, v1
	v_mul_lo_u32 v2, s0, v1
	v_mul_hi_u32 v2, v1, v2
	v_add_u32_e32 v1, v1, v2
	v_mul_hi_u32 v1, v0, v1
	v_mul_lo_u32 v2, v1, s2
	v_sub_u32_e32 v2, v0, v2
	v_add_u32_e32 v3, 1, v1
	v_subrev_u32_e32 v4, s2, v2
	v_cmp_le_u32_e32 vcc, s2, v2
	s_nop 1
	v_cndmask_b32_e32 v2, v2, v4, vcc
	v_cndmask_b32_e32 v1, v1, v3, vcc
	v_add_u32_e32 v3, 1, v1
	v_cmp_le_u32_e32 vcc, s2, v2
	s_nop 1
	v_cndmask_b32_e32 v2, v1, v3, vcc
	v_mov_b32_e32 v3, 0
.LBB70_7:
	v_mul_lo_u32 v1, v3, s2
	v_mul_lo_u32 v6, v2, s5
	v_mad_u64_u32 v[4:5], s[0:1], v2, s2, 0
	v_add3_u32 v1, v5, v6, v1
	v_sub_co_u32_e32 v0, vcc, v0, v4
	v_mul_lo_u32 v5, v3, s8
	s_nop 0
	v_subb_co_u32_e32 v1, vcc, 0, v1, vcc
	v_mul_lo_u32 v6, v2, s9
	v_mad_u64_u32 v[2:3], s[4:5], v2, s8, 0
	v_add3_u32 v3, v3, v6, v5
	s_mul_i32 s2, s11, s3
	s_mul_hi_u32 s4, s10, s3
	s_waitcnt lgkmcnt(0)
	v_lshl_add_u64 v[0:1], v[0:1], 2, s[14:15]
	v_cmp_eq_f32_e64 s[0:1], s12, 0
	s_add_i32 s5, s4, s2
	s_mul_i32 s4, s10, s3
	v_lshl_add_u64 v[0:1], v[2:3], 2, v[0:1]
	v_mov_b32_e32 v4, 0
	v_lshl_add_u64 v[0:1], s[4:5], 2, v[0:1]
	s_and_b64 vcc, exec, s[0:1]
	s_cbranch_vccnz .LBB70_9
; %bb.8:
	global_load_dword v2, v[0:1], off
	s_waitcnt vmcnt(0)
	v_mul_f32_e32 v4, s12, v2
.LBB70_9:
	global_store_dword v[0:1], v4, off
.LBB70_10:
	s_endpgm
.LBB70_11:
                                        ; implicit-def: $vgpr2_vgpr3
	s_branch .LBB70_6
	.section	.rodata,"a",@progbits
	.p2align	6, 0x0
	.amdhsa_kernel _ZN9rocsparseL15scale_2d_kernelILj256ElfEEvT0_S1_llNS_24const_host_device_scalarIT1_EEPS3_16rocsparse_order_b
		.amdhsa_group_segment_fixed_size 0
		.amdhsa_private_segment_fixed_size 0
		.amdhsa_kernarg_size 56
		.amdhsa_user_sgpr_count 2
		.amdhsa_user_sgpr_dispatch_ptr 0
		.amdhsa_user_sgpr_queue_ptr 0
		.amdhsa_user_sgpr_kernarg_segment_ptr 1
		.amdhsa_user_sgpr_dispatch_id 0
		.amdhsa_user_sgpr_kernarg_preload_length 0
		.amdhsa_user_sgpr_kernarg_preload_offset 0
		.amdhsa_user_sgpr_private_segment_size 0
		.amdhsa_uses_dynamic_stack 0
		.amdhsa_enable_private_segment 0
		.amdhsa_system_sgpr_workgroup_id_x 1
		.amdhsa_system_sgpr_workgroup_id_y 1
		.amdhsa_system_sgpr_workgroup_id_z 0
		.amdhsa_system_sgpr_workgroup_info 0
		.amdhsa_system_vgpr_workitem_id 0
		.amdhsa_next_free_vgpr 12
		.amdhsa_next_free_sgpr 25
		.amdhsa_accum_offset 12
		.amdhsa_reserve_vcc 1
		.amdhsa_float_round_mode_32 0
		.amdhsa_float_round_mode_16_64 0
		.amdhsa_float_denorm_mode_32 3
		.amdhsa_float_denorm_mode_16_64 3
		.amdhsa_dx10_clamp 1
		.amdhsa_ieee_mode 1
		.amdhsa_fp16_overflow 0
		.amdhsa_tg_split 0
		.amdhsa_exception_fp_ieee_invalid_op 0
		.amdhsa_exception_fp_denorm_src 0
		.amdhsa_exception_fp_ieee_div_zero 0
		.amdhsa_exception_fp_ieee_overflow 0
		.amdhsa_exception_fp_ieee_underflow 0
		.amdhsa_exception_fp_ieee_inexact 0
		.amdhsa_exception_int_div_zero 0
	.end_amdhsa_kernel
	.section	.text._ZN9rocsparseL15scale_2d_kernelILj256ElfEEvT0_S1_llNS_24const_host_device_scalarIT1_EEPS3_16rocsparse_order_b,"axG",@progbits,_ZN9rocsparseL15scale_2d_kernelILj256ElfEEvT0_S1_llNS_24const_host_device_scalarIT1_EEPS3_16rocsparse_order_b,comdat
.Lfunc_end70:
	.size	_ZN9rocsparseL15scale_2d_kernelILj256ElfEEvT0_S1_llNS_24const_host_device_scalarIT1_EEPS3_16rocsparse_order_b, .Lfunc_end70-_ZN9rocsparseL15scale_2d_kernelILj256ElfEEvT0_S1_llNS_24const_host_device_scalarIT1_EEPS3_16rocsparse_order_b
                                        ; -- End function
	.set _ZN9rocsparseL15scale_2d_kernelILj256ElfEEvT0_S1_llNS_24const_host_device_scalarIT1_EEPS3_16rocsparse_order_b.num_vgpr, 12
	.set _ZN9rocsparseL15scale_2d_kernelILj256ElfEEvT0_S1_llNS_24const_host_device_scalarIT1_EEPS3_16rocsparse_order_b.num_agpr, 0
	.set _ZN9rocsparseL15scale_2d_kernelILj256ElfEEvT0_S1_llNS_24const_host_device_scalarIT1_EEPS3_16rocsparse_order_b.numbered_sgpr, 25
	.set _ZN9rocsparseL15scale_2d_kernelILj256ElfEEvT0_S1_llNS_24const_host_device_scalarIT1_EEPS3_16rocsparse_order_b.num_named_barrier, 0
	.set _ZN9rocsparseL15scale_2d_kernelILj256ElfEEvT0_S1_llNS_24const_host_device_scalarIT1_EEPS3_16rocsparse_order_b.private_seg_size, 0
	.set _ZN9rocsparseL15scale_2d_kernelILj256ElfEEvT0_S1_llNS_24const_host_device_scalarIT1_EEPS3_16rocsparse_order_b.uses_vcc, 1
	.set _ZN9rocsparseL15scale_2d_kernelILj256ElfEEvT0_S1_llNS_24const_host_device_scalarIT1_EEPS3_16rocsparse_order_b.uses_flat_scratch, 0
	.set _ZN9rocsparseL15scale_2d_kernelILj256ElfEEvT0_S1_llNS_24const_host_device_scalarIT1_EEPS3_16rocsparse_order_b.has_dyn_sized_stack, 0
	.set _ZN9rocsparseL15scale_2d_kernelILj256ElfEEvT0_S1_llNS_24const_host_device_scalarIT1_EEPS3_16rocsparse_order_b.has_recursion, 0
	.set _ZN9rocsparseL15scale_2d_kernelILj256ElfEEvT0_S1_llNS_24const_host_device_scalarIT1_EEPS3_16rocsparse_order_b.has_indirect_call, 0
	.section	.AMDGPU.csdata,"",@progbits
; Kernel info:
; codeLenInByte = 1056
; TotalNumSgprs: 31
; NumVgprs: 12
; NumAgprs: 0
; TotalNumVgprs: 12
; ScratchSize: 0
; MemoryBound: 0
; FloatMode: 240
; IeeeMode: 1
; LDSByteSize: 0 bytes/workgroup (compile time only)
; SGPRBlocks: 3
; VGPRBlocks: 1
; NumSGPRsForWavesPerEU: 31
; NumVGPRsForWavesPerEU: 12
; AccumOffset: 12
; Occupancy: 8
; WaveLimiterHint : 0
; COMPUTE_PGM_RSRC2:SCRATCH_EN: 0
; COMPUTE_PGM_RSRC2:USER_SGPR: 2
; COMPUTE_PGM_RSRC2:TRAP_HANDLER: 0
; COMPUTE_PGM_RSRC2:TGID_X_EN: 1
; COMPUTE_PGM_RSRC2:TGID_Y_EN: 1
; COMPUTE_PGM_RSRC2:TGID_Z_EN: 0
; COMPUTE_PGM_RSRC2:TIDIG_COMP_CNT: 0
; COMPUTE_PGM_RSRC3_GFX90A:ACCUM_OFFSET: 2
; COMPUTE_PGM_RSRC3_GFX90A:TG_SPLIT: 0
	.section	.text._ZN9rocsparseL15scale_2d_kernelILj256EldEEvT0_S1_llNS_24const_host_device_scalarIT1_EEPS3_16rocsparse_order_b,"axG",@progbits,_ZN9rocsparseL15scale_2d_kernelILj256EldEEvT0_S1_llNS_24const_host_device_scalarIT1_EEPS3_16rocsparse_order_b,comdat
	.globl	_ZN9rocsparseL15scale_2d_kernelILj256EldEEvT0_S1_llNS_24const_host_device_scalarIT1_EEPS3_16rocsparse_order_b ; -- Begin function _ZN9rocsparseL15scale_2d_kernelILj256EldEEvT0_S1_llNS_24const_host_device_scalarIT1_EEPS3_16rocsparse_order_b
	.p2align	8
	.type	_ZN9rocsparseL15scale_2d_kernelILj256EldEEvT0_S1_llNS_24const_host_device_scalarIT1_EEPS3_16rocsparse_order_b,@function
_ZN9rocsparseL15scale_2d_kernelILj256EldEEvT0_S1_llNS_24const_host_device_scalarIT1_EEPS3_16rocsparse_order_b: ; @_ZN9rocsparseL15scale_2d_kernelILj256EldEEvT0_S1_llNS_24const_host_device_scalarIT1_EEPS3_16rocsparse_order_b
; %bb.0:
	s_load_dwordx2 s[14:15], s[0:1], 0x30
	s_load_dwordx2 s[4:5], s[0:1], 0x20
	s_waitcnt lgkmcnt(0)
	s_bitcmp1_b32 s15, 0
	s_cselect_b64 s[6:7], -1, 0
	s_and_b64 vcc, exec, s[6:7]
	v_mov_b64_e32 v[2:3], s[4:5]
	s_cbranch_vccnz .LBB71_2
; %bb.1:
	v_mov_b64_e32 v[2:3], s[4:5]
	flat_load_dwordx2 v[2:3], v[2:3]
.LBB71_2:
	s_waitcnt vmcnt(0) lgkmcnt(0)
	v_cmp_neq_f64_e32 vcc, 1.0, v[2:3]
	s_and_saveexec_b64 s[4:5], vcc
	s_cbranch_execz .LBB71_10
; %bb.3:
	s_load_dwordx8 s[4:11], s[0:1], 0x0
	v_lshl_or_b32 v0, s2, 8, v0
	v_mov_b32_e32 v1, 0
	s_waitcnt lgkmcnt(0)
	s_mul_i32 s2, s6, s5
	s_mul_hi_u32 s12, s6, s4
	s_mul_i32 s13, s7, s4
	s_add_i32 s2, s12, s2
	s_add_i32 s13, s2, s13
	s_mul_i32 s12, s6, s4
	v_cmp_gt_i64_e32 vcc, s[12:13], v[0:1]
	s_and_b64 exec, exec, vcc
	s_cbranch_execz .LBB71_10
; %bb.4:
	s_load_dwordx2 s[12:13], s[0:1], 0x28
	s_cmp_eq_u32 s14, 1
	s_cselect_b32 s5, s5, s7
	s_cselect_b32 s2, s4, s6
	s_mov_b32 s4, 0
	s_cmp_lg_u64 s[4:5], 0
	s_cbranch_scc0 .LBB71_11
; %bb.5:
	s_ashr_i32 s6, s5, 31
	s_add_u32 s0, s2, s6
	s_mov_b32 s7, s6
	s_addc_u32 s1, s5, s6
	s_xor_b64 s[16:17], s[0:1], s[6:7]
	v_cvt_f32_u32_e32 v4, s16
	v_cvt_f32_u32_e32 v5, s17
	s_sub_u32 s4, 0, s16
	s_subb_u32 s7, 0, s17
	v_lshl_add_u64 v[6:7], v[0:1], 0, 0
	v_fmamk_f32 v4, v5, 0x4f800000, v4
	v_rcp_f32_e32 v4, v4
	s_nop 0
	v_mul_f32_e32 v4, 0x5f7ffffc, v4
	v_mul_f32_e32 v5, 0x2f800000, v4
	v_trunc_f32_e32 v5, v5
	v_fmamk_f32 v4, v5, 0xcf800000, v4
	v_cvt_u32_f32_e32 v5, v5
	v_cvt_u32_f32_e32 v4, v4
	v_readfirstlane_b32 s18, v5
	v_readfirstlane_b32 s0, v4
	s_mul_i32 s1, s4, s18
	s_mul_hi_u32 s20, s4, s0
	s_mul_i32 s19, s7, s0
	s_add_i32 s1, s20, s1
	s_add_i32 s1, s1, s19
	s_mul_i32 s21, s4, s0
	s_mul_i32 s20, s0, s1
	s_mul_hi_u32 s22, s0, s21
	s_mul_hi_u32 s19, s0, s1
	s_add_u32 s20, s22, s20
	s_addc_u32 s19, 0, s19
	s_mul_hi_u32 s23, s18, s21
	s_mul_i32 s21, s18, s21
	s_add_u32 s20, s20, s21
	s_mul_hi_u32 s22, s18, s1
	s_addc_u32 s19, s19, s23
	s_addc_u32 s20, s22, 0
	s_mul_i32 s1, s18, s1
	s_add_u32 s1, s19, s1
	s_addc_u32 s19, 0, s20
	s_add_u32 s20, s0, s1
	s_cselect_b64 s[0:1], -1, 0
	s_cmp_lg_u64 s[0:1], 0
	s_addc_u32 s18, s18, s19
	s_mul_i32 s0, s4, s18
	s_mul_hi_u32 s1, s4, s20
	s_add_i32 s0, s1, s0
	s_mul_i32 s7, s7, s20
	s_add_i32 s0, s0, s7
	s_mul_i32 s4, s4, s20
	s_mul_hi_u32 s7, s18, s4
	s_mul_i32 s19, s18, s4
	s_mul_i32 s22, s20, s0
	s_mul_hi_u32 s4, s20, s4
	s_mul_hi_u32 s21, s20, s0
	s_add_u32 s4, s4, s22
	s_addc_u32 s21, 0, s21
	s_add_u32 s4, s4, s19
	s_mul_hi_u32 s1, s18, s0
	s_addc_u32 s4, s21, s7
	s_addc_u32 s1, s1, 0
	s_mul_i32 s0, s18, s0
	s_add_u32 s0, s4, s0
	s_addc_u32 s4, 0, s1
	s_add_u32 s7, s20, s0
	s_cselect_b64 s[0:1], -1, 0
	s_cmp_lg_u64 s[0:1], 0
	s_addc_u32 s4, s18, s4
	v_mov_b32_e32 v5, 0
	v_mad_u64_u32 v[8:9], s[0:1], v6, s4, 0
	v_mul_hi_u32 v4, v6, s7
	v_lshl_add_u64 v[8:9], v[4:5], 0, v[8:9]
	v_mad_u64_u32 v[12:13], s[0:1], v7, s7, 0
	v_add_co_u32_e32 v1, vcc, v8, v12
	v_mad_u64_u32 v[10:11], s[0:1], v7, s4, 0
	s_nop 0
	v_addc_co_u32_e32 v4, vcc, v9, v13, vcc
	s_nop 1
	v_addc_co_u32_e32 v11, vcc, 0, v11, vcc
	v_lshl_add_u64 v[4:5], v[4:5], 0, v[10:11]
	v_mul_lo_u32 v1, s17, v4
	v_mul_lo_u32 v10, s16, v5
	v_mad_u64_u32 v[8:9], s[0:1], s16, v4, 0
	v_add3_u32 v1, v9, v10, v1
	v_sub_u32_e32 v9, v7, v1
	v_mov_b32_e32 v10, s17
	v_sub_co_u32_e32 v6, vcc, v6, v8
	s_nop 1
	v_subb_co_u32_e64 v8, s[0:1], v9, v10, vcc
	v_subrev_co_u32_e64 v9, s[0:1], s16, v6
	v_subb_co_u32_e32 v1, vcc, v7, v1, vcc
	s_nop 0
	v_subbrev_co_u32_e64 v8, s[0:1], 0, v8, s[0:1]
	v_cmp_le_u32_e64 s[0:1], s17, v8
	v_cmp_le_u32_e32 vcc, s17, v1
	s_nop 0
	v_cndmask_b32_e64 v10, 0, -1, s[0:1]
	v_cmp_le_u32_e64 s[0:1], s16, v9
	v_cndmask_b32_e64 v7, 0, -1, vcc
	v_cmp_le_u32_e32 vcc, s16, v6
	v_cndmask_b32_e64 v9, 0, -1, s[0:1]
	v_cmp_eq_u32_e64 s[0:1], s17, v8
	v_cndmask_b32_e64 v6, 0, -1, vcc
	v_cmp_eq_u32_e32 vcc, s17, v1
	v_cndmask_b32_e64 v12, v10, v9, s[0:1]
	v_lshl_add_u64 v[8:9], v[4:5], 0, 2
	v_lshl_add_u64 v[10:11], v[4:5], 0, 1
	v_cmp_ne_u32_e64 s[0:1], 0, v12
	v_cndmask_b32_e32 v1, v7, v6, vcc
	v_cmp_ne_u32_e32 vcc, 0, v1
	v_cndmask_b32_e64 v9, v11, v9, s[0:1]
	s_nop 0
	v_cndmask_b32_e32 v1, v5, v9, vcc
	v_cndmask_b32_e64 v5, v10, v8, s[0:1]
	v_cndmask_b32_e32 v4, v4, v5, vcc
	v_xor_b32_e32 v4, s6, v4
	v_xor_b32_e32 v1, s6, v1
	v_mov_b32_e32 v5, s6
	v_subrev_co_u32_e32 v4, vcc, s6, v4
	s_nop 1
	v_subb_co_u32_e32 v5, vcc, v1, v5, vcc
	s_cbranch_execnz .LBB71_7
.LBB71_6:
	v_cvt_f32_u32_e32 v1, s2
	s_sub_i32 s0, 0, s2
	v_rcp_iflag_f32_e32 v1, v1
	s_nop 0
	v_mul_f32_e32 v1, 0x4f7ffffe, v1
	v_cvt_u32_f32_e32 v1, v1
	v_mul_lo_u32 v4, s0, v1
	v_mul_hi_u32 v4, v1, v4
	v_add_u32_e32 v1, v1, v4
	v_mul_hi_u32 v1, v0, v1
	v_mul_lo_u32 v4, v1, s2
	v_sub_u32_e32 v4, v0, v4
	v_add_u32_e32 v5, 1, v1
	v_subrev_u32_e32 v6, s2, v4
	v_cmp_le_u32_e32 vcc, s2, v4
	s_nop 1
	v_cndmask_b32_e32 v4, v4, v6, vcc
	v_cndmask_b32_e32 v1, v1, v5, vcc
	v_add_u32_e32 v5, 1, v1
	v_cmp_le_u32_e32 vcc, s2, v4
	s_nop 1
	v_cndmask_b32_e32 v4, v1, v5, vcc
	v_mov_b32_e32 v5, 0
.LBB71_7:
	v_mul_lo_u32 v1, v5, s2
	v_mul_lo_u32 v8, v4, s5
	v_mad_u64_u32 v[6:7], s[0:1], v4, s2, 0
	v_add3_u32 v1, v7, v8, v1
	v_sub_co_u32_e32 v6, vcc, v0, v6
	v_mul_lo_u32 v8, v5, s8
	s_nop 0
	v_subb_co_u32_e32 v7, vcc, 0, v1, vcc
	v_mul_lo_u32 v9, v4, s9
	v_mad_u64_u32 v[4:5], s[0:1], v4, s8, 0
	v_add3_u32 v5, v5, v9, v8
	s_mul_i32 s0, s11, s3
	s_mul_hi_u32 s1, s10, s3
	s_waitcnt lgkmcnt(0)
	v_lshl_add_u64 v[6:7], v[6:7], 3, s[12:13]
	s_add_i32 s1, s1, s0
	s_mul_i32 s0, s10, s3
	v_lshl_add_u64 v[4:5], v[4:5], 3, v[6:7]
	v_mov_b64_e32 v[0:1], 0
	v_cmp_neq_f64_e32 vcc, 0, v[2:3]
	v_lshl_add_u64 v[4:5], s[0:1], 3, v[4:5]
	s_and_saveexec_b64 s[0:1], vcc
	s_cbranch_execz .LBB71_9
; %bb.8:
	global_load_dwordx2 v[0:1], v[4:5], off
	s_waitcnt vmcnt(0)
	v_mul_f64 v[0:1], v[2:3], v[0:1]
.LBB71_9:
	s_or_b64 exec, exec, s[0:1]
	global_store_dwordx2 v[4:5], v[0:1], off
.LBB71_10:
	s_endpgm
.LBB71_11:
                                        ; implicit-def: $vgpr4_vgpr5
	s_branch .LBB71_6
	.section	.rodata,"a",@progbits
	.p2align	6, 0x0
	.amdhsa_kernel _ZN9rocsparseL15scale_2d_kernelILj256EldEEvT0_S1_llNS_24const_host_device_scalarIT1_EEPS3_16rocsparse_order_b
		.amdhsa_group_segment_fixed_size 0
		.amdhsa_private_segment_fixed_size 0
		.amdhsa_kernarg_size 56
		.amdhsa_user_sgpr_count 2
		.amdhsa_user_sgpr_dispatch_ptr 0
		.amdhsa_user_sgpr_queue_ptr 0
		.amdhsa_user_sgpr_kernarg_segment_ptr 1
		.amdhsa_user_sgpr_dispatch_id 0
		.amdhsa_user_sgpr_kernarg_preload_length 0
		.amdhsa_user_sgpr_kernarg_preload_offset 0
		.amdhsa_user_sgpr_private_segment_size 0
		.amdhsa_uses_dynamic_stack 0
		.amdhsa_enable_private_segment 0
		.amdhsa_system_sgpr_workgroup_id_x 1
		.amdhsa_system_sgpr_workgroup_id_y 1
		.amdhsa_system_sgpr_workgroup_id_z 0
		.amdhsa_system_sgpr_workgroup_info 0
		.amdhsa_system_vgpr_workitem_id 0
		.amdhsa_next_free_vgpr 14
		.amdhsa_next_free_sgpr 24
		.amdhsa_accum_offset 16
		.amdhsa_reserve_vcc 1
		.amdhsa_float_round_mode_32 0
		.amdhsa_float_round_mode_16_64 0
		.amdhsa_float_denorm_mode_32 3
		.amdhsa_float_denorm_mode_16_64 3
		.amdhsa_dx10_clamp 1
		.amdhsa_ieee_mode 1
		.amdhsa_fp16_overflow 0
		.amdhsa_tg_split 0
		.amdhsa_exception_fp_ieee_invalid_op 0
		.amdhsa_exception_fp_denorm_src 0
		.amdhsa_exception_fp_ieee_div_zero 0
		.amdhsa_exception_fp_ieee_overflow 0
		.amdhsa_exception_fp_ieee_underflow 0
		.amdhsa_exception_fp_ieee_inexact 0
		.amdhsa_exception_int_div_zero 0
	.end_amdhsa_kernel
	.section	.text._ZN9rocsparseL15scale_2d_kernelILj256EldEEvT0_S1_llNS_24const_host_device_scalarIT1_EEPS3_16rocsparse_order_b,"axG",@progbits,_ZN9rocsparseL15scale_2d_kernelILj256EldEEvT0_S1_llNS_24const_host_device_scalarIT1_EEPS3_16rocsparse_order_b,comdat
.Lfunc_end71:
	.size	_ZN9rocsparseL15scale_2d_kernelILj256EldEEvT0_S1_llNS_24const_host_device_scalarIT1_EEPS3_16rocsparse_order_b, .Lfunc_end71-_ZN9rocsparseL15scale_2d_kernelILj256EldEEvT0_S1_llNS_24const_host_device_scalarIT1_EEPS3_16rocsparse_order_b
                                        ; -- End function
	.set _ZN9rocsparseL15scale_2d_kernelILj256EldEEvT0_S1_llNS_24const_host_device_scalarIT1_EEPS3_16rocsparse_order_b.num_vgpr, 14
	.set _ZN9rocsparseL15scale_2d_kernelILj256EldEEvT0_S1_llNS_24const_host_device_scalarIT1_EEPS3_16rocsparse_order_b.num_agpr, 0
	.set _ZN9rocsparseL15scale_2d_kernelILj256EldEEvT0_S1_llNS_24const_host_device_scalarIT1_EEPS3_16rocsparse_order_b.numbered_sgpr, 24
	.set _ZN9rocsparseL15scale_2d_kernelILj256EldEEvT0_S1_llNS_24const_host_device_scalarIT1_EEPS3_16rocsparse_order_b.num_named_barrier, 0
	.set _ZN9rocsparseL15scale_2d_kernelILj256EldEEvT0_S1_llNS_24const_host_device_scalarIT1_EEPS3_16rocsparse_order_b.private_seg_size, 0
	.set _ZN9rocsparseL15scale_2d_kernelILj256EldEEvT0_S1_llNS_24const_host_device_scalarIT1_EEPS3_16rocsparse_order_b.uses_vcc, 1
	.set _ZN9rocsparseL15scale_2d_kernelILj256EldEEvT0_S1_llNS_24const_host_device_scalarIT1_EEPS3_16rocsparse_order_b.uses_flat_scratch, 0
	.set _ZN9rocsparseL15scale_2d_kernelILj256EldEEvT0_S1_llNS_24const_host_device_scalarIT1_EEPS3_16rocsparse_order_b.has_dyn_sized_stack, 0
	.set _ZN9rocsparseL15scale_2d_kernelILj256EldEEvT0_S1_llNS_24const_host_device_scalarIT1_EEPS3_16rocsparse_order_b.has_recursion, 0
	.set _ZN9rocsparseL15scale_2d_kernelILj256EldEEvT0_S1_llNS_24const_host_device_scalarIT1_EEPS3_16rocsparse_order_b.has_indirect_call, 0
	.section	.AMDGPU.csdata,"",@progbits
; Kernel info:
; codeLenInByte = 1064
; TotalNumSgprs: 30
; NumVgprs: 14
; NumAgprs: 0
; TotalNumVgprs: 14
; ScratchSize: 0
; MemoryBound: 1
; FloatMode: 240
; IeeeMode: 1
; LDSByteSize: 0 bytes/workgroup (compile time only)
; SGPRBlocks: 3
; VGPRBlocks: 1
; NumSGPRsForWavesPerEU: 30
; NumVGPRsForWavesPerEU: 14
; AccumOffset: 16
; Occupancy: 8
; WaveLimiterHint : 0
; COMPUTE_PGM_RSRC2:SCRATCH_EN: 0
; COMPUTE_PGM_RSRC2:USER_SGPR: 2
; COMPUTE_PGM_RSRC2:TRAP_HANDLER: 0
; COMPUTE_PGM_RSRC2:TGID_X_EN: 1
; COMPUTE_PGM_RSRC2:TGID_Y_EN: 1
; COMPUTE_PGM_RSRC2:TGID_Z_EN: 0
; COMPUTE_PGM_RSRC2:TIDIG_COMP_CNT: 0
; COMPUTE_PGM_RSRC3_GFX90A:ACCUM_OFFSET: 3
; COMPUTE_PGM_RSRC3_GFX90A:TG_SPLIT: 0
	.section	.text._ZN9rocsparseL15scale_2d_kernelILj256El21rocsparse_complex_numIfEEEvT0_S3_llNS_24const_host_device_scalarIT1_EEPS5_16rocsparse_order_b,"axG",@progbits,_ZN9rocsparseL15scale_2d_kernelILj256El21rocsparse_complex_numIfEEEvT0_S3_llNS_24const_host_device_scalarIT1_EEPS5_16rocsparse_order_b,comdat
	.globl	_ZN9rocsparseL15scale_2d_kernelILj256El21rocsparse_complex_numIfEEEvT0_S3_llNS_24const_host_device_scalarIT1_EEPS5_16rocsparse_order_b ; -- Begin function _ZN9rocsparseL15scale_2d_kernelILj256El21rocsparse_complex_numIfEEEvT0_S3_llNS_24const_host_device_scalarIT1_EEPS5_16rocsparse_order_b
	.p2align	8
	.type	_ZN9rocsparseL15scale_2d_kernelILj256El21rocsparse_complex_numIfEEEvT0_S3_llNS_24const_host_device_scalarIT1_EEPS5_16rocsparse_order_b,@function
_ZN9rocsparseL15scale_2d_kernelILj256El21rocsparse_complex_numIfEEEvT0_S3_llNS_24const_host_device_scalarIT1_EEPS5_16rocsparse_order_b: ; @_ZN9rocsparseL15scale_2d_kernelILj256El21rocsparse_complex_numIfEEEvT0_S3_llNS_24const_host_device_scalarIT1_EEPS5_16rocsparse_order_b
; %bb.0:
	s_load_dwordx2 s[14:15], s[0:1], 0x30
	s_load_dwordx2 s[4:5], s[0:1], 0x20
	s_add_u32 s6, s0, 32
	s_addc_u32 s7, s1, 0
	s_waitcnt lgkmcnt(0)
	s_bitcmp1_b32 s15, 0
	s_cselect_b32 s5, s7, s5
	s_cselect_b32 s4, s6, s4
	v_mov_b32_e32 v2, s4
	v_mov_b32_e32 v3, s5
	flat_load_dwordx2 v[2:3], v[2:3]
	s_waitcnt vmcnt(0) lgkmcnt(0)
	v_cmp_neq_f32_e32 vcc, 1.0, v2
	v_cmp_neq_f32_e64 s[4:5], 0, v3
	s_or_b64 s[4:5], vcc, s[4:5]
	s_and_saveexec_b64 s[6:7], s[4:5]
	s_cbranch_execz .LBB72_9
; %bb.1:
	s_load_dwordx8 s[4:11], s[0:1], 0x0
	v_lshl_or_b32 v0, s2, 8, v0
	v_mov_b32_e32 v1, 0
	s_waitcnt lgkmcnt(0)
	s_mul_i32 s2, s6, s5
	s_mul_hi_u32 s12, s6, s4
	s_mul_i32 s13, s7, s4
	s_add_i32 s2, s12, s2
	s_add_i32 s13, s2, s13
	s_mul_i32 s12, s6, s4
	v_cmp_gt_i64_e32 vcc, s[12:13], v[0:1]
	s_and_b64 exec, exec, vcc
	s_cbranch_execz .LBB72_9
; %bb.2:
	s_load_dwordx2 s[12:13], s[0:1], 0x28
	s_cmp_eq_u32 s14, 1
	s_cselect_b32 s5, s5, s7
	s_cselect_b32 s2, s4, s6
	s_mov_b32 s4, 0
	s_cmp_lg_u64 s[4:5], 0
	s_cbranch_scc0 .LBB72_10
; %bb.3:
	s_ashr_i32 s6, s5, 31
	s_add_u32 s0, s2, s6
	s_mov_b32 s7, s6
	s_addc_u32 s1, s5, s6
	s_xor_b64 s[16:17], s[0:1], s[6:7]
	v_cvt_f32_u32_e32 v4, s16
	v_cvt_f32_u32_e32 v5, s17
	s_sub_u32 s4, 0, s16
	s_subb_u32 s7, 0, s17
	v_lshl_add_u64 v[6:7], v[0:1], 0, 0
	v_fmamk_f32 v4, v5, 0x4f800000, v4
	v_rcp_f32_e32 v4, v4
	s_nop 0
	v_mul_f32_e32 v4, 0x5f7ffffc, v4
	v_mul_f32_e32 v5, 0x2f800000, v4
	v_trunc_f32_e32 v5, v5
	v_fmamk_f32 v4, v5, 0xcf800000, v4
	v_cvt_u32_f32_e32 v5, v5
	v_cvt_u32_f32_e32 v4, v4
	v_readfirstlane_b32 s18, v5
	v_readfirstlane_b32 s0, v4
	s_mul_i32 s1, s4, s18
	s_mul_hi_u32 s20, s4, s0
	s_mul_i32 s19, s7, s0
	s_add_i32 s1, s20, s1
	s_add_i32 s1, s1, s19
	s_mul_i32 s21, s4, s0
	s_mul_i32 s20, s0, s1
	s_mul_hi_u32 s22, s0, s21
	s_mul_hi_u32 s19, s0, s1
	s_add_u32 s20, s22, s20
	s_addc_u32 s19, 0, s19
	s_mul_hi_u32 s23, s18, s21
	s_mul_i32 s21, s18, s21
	s_add_u32 s20, s20, s21
	s_mul_hi_u32 s22, s18, s1
	s_addc_u32 s19, s19, s23
	s_addc_u32 s20, s22, 0
	s_mul_i32 s1, s18, s1
	s_add_u32 s1, s19, s1
	s_addc_u32 s19, 0, s20
	s_add_u32 s20, s0, s1
	s_cselect_b64 s[0:1], -1, 0
	s_cmp_lg_u64 s[0:1], 0
	s_addc_u32 s18, s18, s19
	s_mul_i32 s0, s4, s18
	s_mul_hi_u32 s1, s4, s20
	s_add_i32 s0, s1, s0
	s_mul_i32 s7, s7, s20
	s_add_i32 s0, s0, s7
	s_mul_i32 s4, s4, s20
	s_mul_hi_u32 s7, s18, s4
	s_mul_i32 s19, s18, s4
	s_mul_i32 s22, s20, s0
	s_mul_hi_u32 s4, s20, s4
	s_mul_hi_u32 s21, s20, s0
	s_add_u32 s4, s4, s22
	s_addc_u32 s21, 0, s21
	s_add_u32 s4, s4, s19
	s_mul_hi_u32 s1, s18, s0
	s_addc_u32 s4, s21, s7
	s_addc_u32 s1, s1, 0
	s_mul_i32 s0, s18, s0
	s_add_u32 s0, s4, s0
	s_addc_u32 s4, 0, s1
	s_add_u32 s7, s20, s0
	s_cselect_b64 s[0:1], -1, 0
	s_cmp_lg_u64 s[0:1], 0
	s_addc_u32 s4, s18, s4
	v_mov_b32_e32 v5, 0
	v_mad_u64_u32 v[8:9], s[0:1], v6, s4, 0
	v_mul_hi_u32 v4, v6, s7
	v_lshl_add_u64 v[8:9], v[4:5], 0, v[8:9]
	v_mad_u64_u32 v[12:13], s[0:1], v7, s7, 0
	v_add_co_u32_e32 v1, vcc, v8, v12
	v_mad_u64_u32 v[10:11], s[0:1], v7, s4, 0
	s_nop 0
	v_addc_co_u32_e32 v4, vcc, v9, v13, vcc
	s_nop 1
	v_addc_co_u32_e32 v11, vcc, 0, v11, vcc
	v_lshl_add_u64 v[4:5], v[4:5], 0, v[10:11]
	v_mul_lo_u32 v1, s17, v4
	v_mul_lo_u32 v10, s16, v5
	v_mad_u64_u32 v[8:9], s[0:1], s16, v4, 0
	v_add3_u32 v1, v9, v10, v1
	v_sub_u32_e32 v9, v7, v1
	v_mov_b32_e32 v10, s17
	v_sub_co_u32_e32 v6, vcc, v6, v8
	s_nop 1
	v_subb_co_u32_e64 v8, s[0:1], v9, v10, vcc
	v_subrev_co_u32_e64 v9, s[0:1], s16, v6
	v_subb_co_u32_e32 v1, vcc, v7, v1, vcc
	s_nop 0
	v_subbrev_co_u32_e64 v8, s[0:1], 0, v8, s[0:1]
	v_cmp_le_u32_e64 s[0:1], s17, v8
	v_cmp_le_u32_e32 vcc, s17, v1
	s_nop 0
	v_cndmask_b32_e64 v10, 0, -1, s[0:1]
	v_cmp_le_u32_e64 s[0:1], s16, v9
	v_cndmask_b32_e64 v7, 0, -1, vcc
	v_cmp_le_u32_e32 vcc, s16, v6
	v_cndmask_b32_e64 v9, 0, -1, s[0:1]
	v_cmp_eq_u32_e64 s[0:1], s17, v8
	v_cndmask_b32_e64 v6, 0, -1, vcc
	v_cmp_eq_u32_e32 vcc, s17, v1
	v_cndmask_b32_e64 v12, v10, v9, s[0:1]
	v_lshl_add_u64 v[8:9], v[4:5], 0, 2
	v_lshl_add_u64 v[10:11], v[4:5], 0, 1
	v_cmp_ne_u32_e64 s[0:1], 0, v12
	v_cndmask_b32_e32 v1, v7, v6, vcc
	v_cmp_ne_u32_e32 vcc, 0, v1
	v_cndmask_b32_e64 v9, v11, v9, s[0:1]
	s_nop 0
	v_cndmask_b32_e32 v1, v5, v9, vcc
	v_cndmask_b32_e64 v5, v10, v8, s[0:1]
	v_cndmask_b32_e32 v4, v4, v5, vcc
	v_xor_b32_e32 v4, s6, v4
	v_xor_b32_e32 v1, s6, v1
	v_mov_b32_e32 v5, s6
	v_subrev_co_u32_e32 v4, vcc, s6, v4
	s_nop 1
	v_subb_co_u32_e32 v5, vcc, v1, v5, vcc
	s_cbranch_execnz .LBB72_5
.LBB72_4:
	v_cvt_f32_u32_e32 v1, s2
	s_sub_i32 s0, 0, s2
	v_rcp_iflag_f32_e32 v1, v1
	s_nop 0
	v_mul_f32_e32 v1, 0x4f7ffffe, v1
	v_cvt_u32_f32_e32 v1, v1
	v_mul_lo_u32 v4, s0, v1
	v_mul_hi_u32 v4, v1, v4
	v_add_u32_e32 v1, v1, v4
	v_mul_hi_u32 v1, v0, v1
	v_mul_lo_u32 v4, v1, s2
	v_sub_u32_e32 v4, v0, v4
	v_add_u32_e32 v5, 1, v1
	v_subrev_u32_e32 v6, s2, v4
	v_cmp_le_u32_e32 vcc, s2, v4
	s_nop 1
	v_cndmask_b32_e32 v4, v4, v6, vcc
	v_cndmask_b32_e32 v1, v1, v5, vcc
	v_add_u32_e32 v5, 1, v1
	v_cmp_le_u32_e32 vcc, s2, v4
	s_nop 1
	v_cndmask_b32_e32 v4, v1, v5, vcc
	v_mov_b32_e32 v5, 0
.LBB72_5:
	v_mul_lo_u32 v1, v5, s2
	v_mul_lo_u32 v8, v4, s5
	v_mad_u64_u32 v[6:7], s[0:1], v4, s2, 0
	v_add3_u32 v1, v7, v8, v1
	v_sub_co_u32_e32 v0, vcc, v0, v6
	v_mul_lo_u32 v6, v5, s8
	s_nop 0
	v_subb_co_u32_e32 v1, vcc, 0, v1, vcc
	v_mul_lo_u32 v7, v4, s9
	v_mad_u64_u32 v[4:5], s[4:5], v4, s8, 0
	v_add3_u32 v5, v5, v7, v6
	s_mul_i32 s2, s11, s3
	s_mul_hi_u32 s4, s10, s3
	s_waitcnt lgkmcnt(0)
	v_lshl_add_u64 v[0:1], v[0:1], 3, s[12:13]
	v_cmp_neq_f32_e32 vcc, 0, v2
	v_cmp_neq_f32_e64 s[0:1], 0, v3
	s_add_i32 s5, s4, s2
	s_mul_i32 s4, s10, s3
	v_lshl_add_u64 v[0:1], v[4:5], 3, v[0:1]
	s_or_b64 s[0:1], vcc, s[0:1]
	v_lshl_add_u64 v[0:1], s[4:5], 3, v[0:1]
	s_and_saveexec_b64 s[2:3], s[0:1]
	s_xor_b64 s[0:1], exec, s[2:3]
	s_cbranch_execz .LBB72_7
; %bb.6:
	global_load_dwordx2 v[4:5], v[0:1], off
	v_mov_b32_e32 v6, v3
	s_waitcnt vmcnt(0)
	v_xor_b32_e32 v8, 0x80000000, v5
	v_mov_b32_e32 v9, v4
	v_pk_mul_f32 v[6:7], v[6:7], v[8:9] op_sel_hi:[0,1]
	v_pk_fma_f32 v[2:3], v[4:5], v[2:3], v[6:7] op_sel_hi:[1,0,1]
	global_store_dwordx2 v[0:1], v[2:3], off
                                        ; implicit-def: $vgpr0_vgpr1
.LBB72_7:
	s_andn2_saveexec_b64 s[0:1], s[0:1]
	s_cbranch_execz .LBB72_9
; %bb.8:
	v_mov_b32_e32 v2, 0
	v_mov_b32_e32 v3, v2
	global_store_dwordx2 v[0:1], v[2:3], off
.LBB72_9:
	s_endpgm
.LBB72_10:
                                        ; implicit-def: $vgpr4_vgpr5
	s_branch .LBB72_4
	.section	.rodata,"a",@progbits
	.p2align	6, 0x0
	.amdhsa_kernel _ZN9rocsparseL15scale_2d_kernelILj256El21rocsparse_complex_numIfEEEvT0_S3_llNS_24const_host_device_scalarIT1_EEPS5_16rocsparse_order_b
		.amdhsa_group_segment_fixed_size 0
		.amdhsa_private_segment_fixed_size 0
		.amdhsa_kernarg_size 56
		.amdhsa_user_sgpr_count 2
		.amdhsa_user_sgpr_dispatch_ptr 0
		.amdhsa_user_sgpr_queue_ptr 0
		.amdhsa_user_sgpr_kernarg_segment_ptr 1
		.amdhsa_user_sgpr_dispatch_id 0
		.amdhsa_user_sgpr_kernarg_preload_length 0
		.amdhsa_user_sgpr_kernarg_preload_offset 0
		.amdhsa_user_sgpr_private_segment_size 0
		.amdhsa_uses_dynamic_stack 0
		.amdhsa_enable_private_segment 0
		.amdhsa_system_sgpr_workgroup_id_x 1
		.amdhsa_system_sgpr_workgroup_id_y 1
		.amdhsa_system_sgpr_workgroup_id_z 0
		.amdhsa_system_sgpr_workgroup_info 0
		.amdhsa_system_vgpr_workitem_id 0
		.amdhsa_next_free_vgpr 14
		.amdhsa_next_free_sgpr 24
		.amdhsa_accum_offset 16
		.amdhsa_reserve_vcc 1
		.amdhsa_float_round_mode_32 0
		.amdhsa_float_round_mode_16_64 0
		.amdhsa_float_denorm_mode_32 3
		.amdhsa_float_denorm_mode_16_64 3
		.amdhsa_dx10_clamp 1
		.amdhsa_ieee_mode 1
		.amdhsa_fp16_overflow 0
		.amdhsa_tg_split 0
		.amdhsa_exception_fp_ieee_invalid_op 0
		.amdhsa_exception_fp_denorm_src 0
		.amdhsa_exception_fp_ieee_div_zero 0
		.amdhsa_exception_fp_ieee_overflow 0
		.amdhsa_exception_fp_ieee_underflow 0
		.amdhsa_exception_fp_ieee_inexact 0
		.amdhsa_exception_int_div_zero 0
	.end_amdhsa_kernel
	.section	.text._ZN9rocsparseL15scale_2d_kernelILj256El21rocsparse_complex_numIfEEEvT0_S3_llNS_24const_host_device_scalarIT1_EEPS5_16rocsparse_order_b,"axG",@progbits,_ZN9rocsparseL15scale_2d_kernelILj256El21rocsparse_complex_numIfEEEvT0_S3_llNS_24const_host_device_scalarIT1_EEPS5_16rocsparse_order_b,comdat
.Lfunc_end72:
	.size	_ZN9rocsparseL15scale_2d_kernelILj256El21rocsparse_complex_numIfEEEvT0_S3_llNS_24const_host_device_scalarIT1_EEPS5_16rocsparse_order_b, .Lfunc_end72-_ZN9rocsparseL15scale_2d_kernelILj256El21rocsparse_complex_numIfEEEvT0_S3_llNS_24const_host_device_scalarIT1_EEPS5_16rocsparse_order_b
                                        ; -- End function
	.set _ZN9rocsparseL15scale_2d_kernelILj256El21rocsparse_complex_numIfEEEvT0_S3_llNS_24const_host_device_scalarIT1_EEPS5_16rocsparse_order_b.num_vgpr, 14
	.set _ZN9rocsparseL15scale_2d_kernelILj256El21rocsparse_complex_numIfEEEvT0_S3_llNS_24const_host_device_scalarIT1_EEPS5_16rocsparse_order_b.num_agpr, 0
	.set _ZN9rocsparseL15scale_2d_kernelILj256El21rocsparse_complex_numIfEEEvT0_S3_llNS_24const_host_device_scalarIT1_EEPS5_16rocsparse_order_b.numbered_sgpr, 24
	.set _ZN9rocsparseL15scale_2d_kernelILj256El21rocsparse_complex_numIfEEEvT0_S3_llNS_24const_host_device_scalarIT1_EEPS5_16rocsparse_order_b.num_named_barrier, 0
	.set _ZN9rocsparseL15scale_2d_kernelILj256El21rocsparse_complex_numIfEEEvT0_S3_llNS_24const_host_device_scalarIT1_EEPS5_16rocsparse_order_b.private_seg_size, 0
	.set _ZN9rocsparseL15scale_2d_kernelILj256El21rocsparse_complex_numIfEEEvT0_S3_llNS_24const_host_device_scalarIT1_EEPS5_16rocsparse_order_b.uses_vcc, 1
	.set _ZN9rocsparseL15scale_2d_kernelILj256El21rocsparse_complex_numIfEEEvT0_S3_llNS_24const_host_device_scalarIT1_EEPS5_16rocsparse_order_b.uses_flat_scratch, 0
	.set _ZN9rocsparseL15scale_2d_kernelILj256El21rocsparse_complex_numIfEEEvT0_S3_llNS_24const_host_device_scalarIT1_EEPS5_16rocsparse_order_b.has_dyn_sized_stack, 0
	.set _ZN9rocsparseL15scale_2d_kernelILj256El21rocsparse_complex_numIfEEEvT0_S3_llNS_24const_host_device_scalarIT1_EEPS5_16rocsparse_order_b.has_recursion, 0
	.set _ZN9rocsparseL15scale_2d_kernelILj256El21rocsparse_complex_numIfEEEvT0_S3_llNS_24const_host_device_scalarIT1_EEPS5_16rocsparse_order_b.has_indirect_call, 0
	.section	.AMDGPU.csdata,"",@progbits
; Kernel info:
; codeLenInByte = 1136
; TotalNumSgprs: 30
; NumVgprs: 14
; NumAgprs: 0
; TotalNumVgprs: 14
; ScratchSize: 0
; MemoryBound: 0
; FloatMode: 240
; IeeeMode: 1
; LDSByteSize: 0 bytes/workgroup (compile time only)
; SGPRBlocks: 3
; VGPRBlocks: 1
; NumSGPRsForWavesPerEU: 30
; NumVGPRsForWavesPerEU: 14
; AccumOffset: 16
; Occupancy: 8
; WaveLimiterHint : 0
; COMPUTE_PGM_RSRC2:SCRATCH_EN: 0
; COMPUTE_PGM_RSRC2:USER_SGPR: 2
; COMPUTE_PGM_RSRC2:TRAP_HANDLER: 0
; COMPUTE_PGM_RSRC2:TGID_X_EN: 1
; COMPUTE_PGM_RSRC2:TGID_Y_EN: 1
; COMPUTE_PGM_RSRC2:TGID_Z_EN: 0
; COMPUTE_PGM_RSRC2:TIDIG_COMP_CNT: 0
; COMPUTE_PGM_RSRC3_GFX90A:ACCUM_OFFSET: 3
; COMPUTE_PGM_RSRC3_GFX90A:TG_SPLIT: 0
	.section	.text._ZN9rocsparseL15scale_2d_kernelILj256El21rocsparse_complex_numIdEEEvT0_S3_llNS_24const_host_device_scalarIT1_EEPS5_16rocsparse_order_b,"axG",@progbits,_ZN9rocsparseL15scale_2d_kernelILj256El21rocsparse_complex_numIdEEEvT0_S3_llNS_24const_host_device_scalarIT1_EEPS5_16rocsparse_order_b,comdat
	.globl	_ZN9rocsparseL15scale_2d_kernelILj256El21rocsparse_complex_numIdEEEvT0_S3_llNS_24const_host_device_scalarIT1_EEPS5_16rocsparse_order_b ; -- Begin function _ZN9rocsparseL15scale_2d_kernelILj256El21rocsparse_complex_numIdEEEvT0_S3_llNS_24const_host_device_scalarIT1_EEPS5_16rocsparse_order_b
	.p2align	8
	.type	_ZN9rocsparseL15scale_2d_kernelILj256El21rocsparse_complex_numIdEEEvT0_S3_llNS_24const_host_device_scalarIT1_EEPS5_16rocsparse_order_b,@function
_ZN9rocsparseL15scale_2d_kernelILj256El21rocsparse_complex_numIdEEEvT0_S3_llNS_24const_host_device_scalarIT1_EEPS5_16rocsparse_order_b: ; @_ZN9rocsparseL15scale_2d_kernelILj256El21rocsparse_complex_numIdEEEvT0_S3_llNS_24const_host_device_scalarIT1_EEPS5_16rocsparse_order_b
; %bb.0:
	s_load_dwordx2 s[14:15], s[0:1], 0x38
	s_load_dwordx2 s[4:5], s[0:1], 0x20
	s_add_u32 s6, s0, 32
	s_addc_u32 s7, s1, 0
	s_waitcnt lgkmcnt(0)
	s_bitcmp1_b32 s15, 0
	s_cselect_b32 s5, s7, s5
	s_cselect_b32 s4, s6, s4
	v_mov_b32_e32 v2, s4
	v_mov_b32_e32 v3, s5
	flat_load_dwordx4 v[2:5], v[2:3]
	s_waitcnt vmcnt(0) lgkmcnt(0)
	v_cmp_neq_f64_e32 vcc, 1.0, v[2:3]
	v_cmp_neq_f64_e64 s[4:5], 0, v[4:5]
	s_or_b64 s[4:5], vcc, s[4:5]
	s_and_saveexec_b64 s[6:7], s[4:5]
	s_cbranch_execz .LBB73_8
; %bb.1:
	s_load_dwordx8 s[4:11], s[0:1], 0x0
	v_lshl_or_b32 v0, s2, 8, v0
	v_mov_b32_e32 v1, 0
	s_waitcnt lgkmcnt(0)
	s_mul_i32 s2, s6, s5
	s_mul_hi_u32 s12, s6, s4
	s_mul_i32 s13, s7, s4
	s_add_i32 s2, s12, s2
	s_add_i32 s13, s2, s13
	s_mul_i32 s12, s6, s4
	v_cmp_gt_i64_e32 vcc, s[12:13], v[0:1]
	s_and_b64 exec, exec, vcc
	s_cbranch_execz .LBB73_8
; %bb.2:
	s_load_dwordx2 s[12:13], s[0:1], 0x30
	s_cmp_eq_u32 s14, 1
	s_cselect_b32 s5, s5, s7
	s_cselect_b32 s2, s4, s6
	s_mov_b32 s4, 0
	s_cmp_lg_u64 s[4:5], 0
	s_cbranch_scc0 .LBB73_9
; %bb.3:
	s_ashr_i32 s6, s5, 31
	s_add_u32 s0, s2, s6
	s_mov_b32 s7, s6
	s_addc_u32 s1, s5, s6
	s_xor_b64 s[16:17], s[0:1], s[6:7]
	v_cvt_f32_u32_e32 v6, s16
	v_cvt_f32_u32_e32 v7, s17
	s_sub_u32 s4, 0, s16
	s_subb_u32 s7, 0, s17
	v_lshl_add_u64 v[8:9], v[0:1], 0, 0
	v_fmamk_f32 v6, v7, 0x4f800000, v6
	v_rcp_f32_e32 v6, v6
	s_nop 0
	v_mul_f32_e32 v6, 0x5f7ffffc, v6
	v_mul_f32_e32 v7, 0x2f800000, v6
	v_trunc_f32_e32 v7, v7
	v_fmamk_f32 v6, v7, 0xcf800000, v6
	v_cvt_u32_f32_e32 v7, v7
	v_cvt_u32_f32_e32 v6, v6
	v_readfirstlane_b32 s18, v7
	v_readfirstlane_b32 s0, v6
	s_mul_i32 s1, s4, s18
	s_mul_hi_u32 s20, s4, s0
	s_mul_i32 s19, s7, s0
	s_add_i32 s1, s20, s1
	s_add_i32 s1, s1, s19
	s_mul_i32 s21, s4, s0
	s_mul_i32 s20, s0, s1
	s_mul_hi_u32 s22, s0, s21
	s_mul_hi_u32 s19, s0, s1
	s_add_u32 s20, s22, s20
	s_addc_u32 s19, 0, s19
	s_mul_hi_u32 s23, s18, s21
	s_mul_i32 s21, s18, s21
	s_add_u32 s20, s20, s21
	s_mul_hi_u32 s22, s18, s1
	s_addc_u32 s19, s19, s23
	s_addc_u32 s20, s22, 0
	s_mul_i32 s1, s18, s1
	s_add_u32 s1, s19, s1
	s_addc_u32 s19, 0, s20
	s_add_u32 s20, s0, s1
	s_cselect_b64 s[0:1], -1, 0
	s_cmp_lg_u64 s[0:1], 0
	s_addc_u32 s18, s18, s19
	s_mul_i32 s0, s4, s18
	s_mul_hi_u32 s1, s4, s20
	s_add_i32 s0, s1, s0
	s_mul_i32 s7, s7, s20
	s_add_i32 s0, s0, s7
	s_mul_i32 s4, s4, s20
	s_mul_hi_u32 s7, s18, s4
	s_mul_i32 s19, s18, s4
	s_mul_i32 s22, s20, s0
	s_mul_hi_u32 s4, s20, s4
	s_mul_hi_u32 s21, s20, s0
	s_add_u32 s4, s4, s22
	s_addc_u32 s21, 0, s21
	s_add_u32 s4, s4, s19
	s_mul_hi_u32 s1, s18, s0
	s_addc_u32 s4, s21, s7
	s_addc_u32 s1, s1, 0
	s_mul_i32 s0, s18, s0
	s_add_u32 s0, s4, s0
	s_addc_u32 s4, 0, s1
	s_add_u32 s7, s20, s0
	s_cselect_b64 s[0:1], -1, 0
	s_cmp_lg_u64 s[0:1], 0
	s_addc_u32 s4, s18, s4
	v_mov_b32_e32 v7, 0
	v_mad_u64_u32 v[10:11], s[0:1], v8, s4, 0
	v_mul_hi_u32 v6, v8, s7
	v_lshl_add_u64 v[10:11], v[6:7], 0, v[10:11]
	v_mad_u64_u32 v[14:15], s[0:1], v9, s7, 0
	v_add_co_u32_e32 v1, vcc, v10, v14
	v_mad_u64_u32 v[12:13], s[0:1], v9, s4, 0
	s_nop 0
	v_addc_co_u32_e32 v6, vcc, v11, v15, vcc
	s_nop 1
	v_addc_co_u32_e32 v13, vcc, 0, v13, vcc
	v_lshl_add_u64 v[6:7], v[6:7], 0, v[12:13]
	v_mul_lo_u32 v1, s17, v6
	v_mul_lo_u32 v12, s16, v7
	v_mad_u64_u32 v[10:11], s[0:1], s16, v6, 0
	v_add3_u32 v1, v11, v12, v1
	v_sub_u32_e32 v11, v9, v1
	v_mov_b32_e32 v12, s17
	v_sub_co_u32_e32 v8, vcc, v8, v10
	s_nop 1
	v_subb_co_u32_e64 v10, s[0:1], v11, v12, vcc
	v_subrev_co_u32_e64 v11, s[0:1], s16, v8
	v_subb_co_u32_e32 v1, vcc, v9, v1, vcc
	s_nop 0
	v_subbrev_co_u32_e64 v10, s[0:1], 0, v10, s[0:1]
	v_cmp_le_u32_e64 s[0:1], s17, v10
	v_cmp_le_u32_e32 vcc, s17, v1
	s_nop 0
	v_cndmask_b32_e64 v12, 0, -1, s[0:1]
	v_cmp_le_u32_e64 s[0:1], s16, v11
	v_cndmask_b32_e64 v9, 0, -1, vcc
	v_cmp_le_u32_e32 vcc, s16, v8
	v_cndmask_b32_e64 v11, 0, -1, s[0:1]
	v_cmp_eq_u32_e64 s[0:1], s17, v10
	v_cndmask_b32_e64 v8, 0, -1, vcc
	v_cmp_eq_u32_e32 vcc, s17, v1
	v_cndmask_b32_e64 v14, v12, v11, s[0:1]
	v_lshl_add_u64 v[10:11], v[6:7], 0, 2
	v_lshl_add_u64 v[12:13], v[6:7], 0, 1
	v_cmp_ne_u32_e64 s[0:1], 0, v14
	v_cndmask_b32_e32 v1, v9, v8, vcc
	v_cmp_ne_u32_e32 vcc, 0, v1
	v_cndmask_b32_e64 v11, v13, v11, s[0:1]
	s_nop 0
	v_cndmask_b32_e32 v1, v7, v11, vcc
	v_cndmask_b32_e64 v7, v12, v10, s[0:1]
	v_cndmask_b32_e32 v6, v6, v7, vcc
	v_xor_b32_e32 v6, s6, v6
	v_xor_b32_e32 v1, s6, v1
	v_mov_b32_e32 v7, s6
	v_subrev_co_u32_e32 v8, vcc, s6, v6
	s_nop 1
	v_subb_co_u32_e32 v9, vcc, v1, v7, vcc
	s_cbranch_execnz .LBB73_5
.LBB73_4:
	v_cvt_f32_u32_e32 v1, s2
	s_sub_i32 s0, 0, s2
	v_mov_b32_e32 v9, 0
	v_rcp_iflag_f32_e32 v1, v1
	s_nop 0
	v_mul_f32_e32 v1, 0x4f7ffffe, v1
	v_cvt_u32_f32_e32 v1, v1
	v_mul_lo_u32 v6, s0, v1
	v_mul_hi_u32 v6, v1, v6
	v_add_u32_e32 v1, v1, v6
	v_mul_hi_u32 v1, v0, v1
	v_mul_lo_u32 v6, v1, s2
	v_sub_u32_e32 v6, v0, v6
	v_add_u32_e32 v7, 1, v1
	v_subrev_u32_e32 v8, s2, v6
	v_cmp_le_u32_e32 vcc, s2, v6
	s_nop 1
	v_cndmask_b32_e32 v6, v6, v8, vcc
	v_cndmask_b32_e32 v1, v1, v7, vcc
	v_add_u32_e32 v7, 1, v1
	v_cmp_le_u32_e32 vcc, s2, v6
	s_nop 1
	v_cndmask_b32_e32 v8, v1, v7, vcc
.LBB73_5:
	v_mul_lo_u32 v1, v9, s2
	v_mul_lo_u32 v10, v8, s5
	v_mad_u64_u32 v[6:7], s[0:1], v8, s2, 0
	v_add3_u32 v1, v7, v10, v1
	v_sub_co_u32_e32 v0, vcc, v0, v6
	v_cmp_neq_f64_e64 s[0:1], 0, v[4:5]
	s_nop 0
	v_subb_co_u32_e32 v1, vcc, 0, v1, vcc
	v_cmp_neq_f64_e32 vcc, 0, v[2:3]
	s_or_b64 s[4:5], vcc, s[0:1]
	v_mul_lo_u32 v10, v9, s8
	v_mul_lo_u32 v11, v8, s9
	v_mad_u64_u32 v[8:9], s[0:1], v8, s8, 0
	v_add3_u32 v9, v9, v11, v10
	s_mul_i32 s0, s11, s3
	s_mul_hi_u32 s1, s10, s3
	s_waitcnt lgkmcnt(0)
	v_lshl_add_u64 v[0:1], v[0:1], 4, s[12:13]
	s_add_i32 s1, s1, s0
	s_mul_i32 s0, s10, s3
	v_lshl_add_u64 v[0:1], v[8:9], 4, v[0:1]
	v_mov_b64_e32 v[6:7], 0
	v_lshl_add_u64 v[0:1], s[0:1], 4, v[0:1]
	v_mov_b64_e32 v[8:9], 0
	s_and_saveexec_b64 s[0:1], s[4:5]
	s_cbranch_execz .LBB73_7
; %bb.6:
	global_load_dwordx4 v[10:13], v[0:1], off
	s_waitcnt vmcnt(0)
	v_mul_f64 v[6:7], v[4:5], -v[12:13]
	v_mul_f64 v[8:9], v[4:5], v[10:11]
	v_fmac_f64_e32 v[6:7], v[10:11], v[2:3]
	v_fmac_f64_e32 v[8:9], v[12:13], v[2:3]
.LBB73_7:
	s_or_b64 exec, exec, s[0:1]
	global_store_dwordx4 v[0:1], v[6:9], off
.LBB73_8:
	s_endpgm
.LBB73_9:
                                        ; implicit-def: $vgpr8_vgpr9
	s_branch .LBB73_4
	.section	.rodata,"a",@progbits
	.p2align	6, 0x0
	.amdhsa_kernel _ZN9rocsparseL15scale_2d_kernelILj256El21rocsparse_complex_numIdEEEvT0_S3_llNS_24const_host_device_scalarIT1_EEPS5_16rocsparse_order_b
		.amdhsa_group_segment_fixed_size 0
		.amdhsa_private_segment_fixed_size 0
		.amdhsa_kernarg_size 64
		.amdhsa_user_sgpr_count 2
		.amdhsa_user_sgpr_dispatch_ptr 0
		.amdhsa_user_sgpr_queue_ptr 0
		.amdhsa_user_sgpr_kernarg_segment_ptr 1
		.amdhsa_user_sgpr_dispatch_id 0
		.amdhsa_user_sgpr_kernarg_preload_length 0
		.amdhsa_user_sgpr_kernarg_preload_offset 0
		.amdhsa_user_sgpr_private_segment_size 0
		.amdhsa_uses_dynamic_stack 0
		.amdhsa_enable_private_segment 0
		.amdhsa_system_sgpr_workgroup_id_x 1
		.amdhsa_system_sgpr_workgroup_id_y 1
		.amdhsa_system_sgpr_workgroup_id_z 0
		.amdhsa_system_sgpr_workgroup_info 0
		.amdhsa_system_vgpr_workitem_id 0
		.amdhsa_next_free_vgpr 16
		.amdhsa_next_free_sgpr 24
		.amdhsa_accum_offset 16
		.amdhsa_reserve_vcc 1
		.amdhsa_float_round_mode_32 0
		.amdhsa_float_round_mode_16_64 0
		.amdhsa_float_denorm_mode_32 3
		.amdhsa_float_denorm_mode_16_64 3
		.amdhsa_dx10_clamp 1
		.amdhsa_ieee_mode 1
		.amdhsa_fp16_overflow 0
		.amdhsa_tg_split 0
		.amdhsa_exception_fp_ieee_invalid_op 0
		.amdhsa_exception_fp_denorm_src 0
		.amdhsa_exception_fp_ieee_div_zero 0
		.amdhsa_exception_fp_ieee_overflow 0
		.amdhsa_exception_fp_ieee_underflow 0
		.amdhsa_exception_fp_ieee_inexact 0
		.amdhsa_exception_int_div_zero 0
	.end_amdhsa_kernel
	.section	.text._ZN9rocsparseL15scale_2d_kernelILj256El21rocsparse_complex_numIdEEEvT0_S3_llNS_24const_host_device_scalarIT1_EEPS5_16rocsparse_order_b,"axG",@progbits,_ZN9rocsparseL15scale_2d_kernelILj256El21rocsparse_complex_numIdEEEvT0_S3_llNS_24const_host_device_scalarIT1_EEPS5_16rocsparse_order_b,comdat
.Lfunc_end73:
	.size	_ZN9rocsparseL15scale_2d_kernelILj256El21rocsparse_complex_numIdEEEvT0_S3_llNS_24const_host_device_scalarIT1_EEPS5_16rocsparse_order_b, .Lfunc_end73-_ZN9rocsparseL15scale_2d_kernelILj256El21rocsparse_complex_numIdEEEvT0_S3_llNS_24const_host_device_scalarIT1_EEPS5_16rocsparse_order_b
                                        ; -- End function
	.set _ZN9rocsparseL15scale_2d_kernelILj256El21rocsparse_complex_numIdEEEvT0_S3_llNS_24const_host_device_scalarIT1_EEPS5_16rocsparse_order_b.num_vgpr, 16
	.set _ZN9rocsparseL15scale_2d_kernelILj256El21rocsparse_complex_numIdEEEvT0_S3_llNS_24const_host_device_scalarIT1_EEPS5_16rocsparse_order_b.num_agpr, 0
	.set _ZN9rocsparseL15scale_2d_kernelILj256El21rocsparse_complex_numIdEEEvT0_S3_llNS_24const_host_device_scalarIT1_EEPS5_16rocsparse_order_b.numbered_sgpr, 24
	.set _ZN9rocsparseL15scale_2d_kernelILj256El21rocsparse_complex_numIdEEEvT0_S3_llNS_24const_host_device_scalarIT1_EEPS5_16rocsparse_order_b.num_named_barrier, 0
	.set _ZN9rocsparseL15scale_2d_kernelILj256El21rocsparse_complex_numIdEEEvT0_S3_llNS_24const_host_device_scalarIT1_EEPS5_16rocsparse_order_b.private_seg_size, 0
	.set _ZN9rocsparseL15scale_2d_kernelILj256El21rocsparse_complex_numIdEEEvT0_S3_llNS_24const_host_device_scalarIT1_EEPS5_16rocsparse_order_b.uses_vcc, 1
	.set _ZN9rocsparseL15scale_2d_kernelILj256El21rocsparse_complex_numIdEEEvT0_S3_llNS_24const_host_device_scalarIT1_EEPS5_16rocsparse_order_b.uses_flat_scratch, 0
	.set _ZN9rocsparseL15scale_2d_kernelILj256El21rocsparse_complex_numIdEEEvT0_S3_llNS_24const_host_device_scalarIT1_EEPS5_16rocsparse_order_b.has_dyn_sized_stack, 0
	.set _ZN9rocsparseL15scale_2d_kernelILj256El21rocsparse_complex_numIdEEEvT0_S3_llNS_24const_host_device_scalarIT1_EEPS5_16rocsparse_order_b.has_recursion, 0
	.set _ZN9rocsparseL15scale_2d_kernelILj256El21rocsparse_complex_numIdEEEvT0_S3_llNS_24const_host_device_scalarIT1_EEPS5_16rocsparse_order_b.has_indirect_call, 0
	.section	.AMDGPU.csdata,"",@progbits
; Kernel info:
; codeLenInByte = 1112
; TotalNumSgprs: 30
; NumVgprs: 16
; NumAgprs: 0
; TotalNumVgprs: 16
; ScratchSize: 0
; MemoryBound: 0
; FloatMode: 240
; IeeeMode: 1
; LDSByteSize: 0 bytes/workgroup (compile time only)
; SGPRBlocks: 3
; VGPRBlocks: 1
; NumSGPRsForWavesPerEU: 30
; NumVGPRsForWavesPerEU: 16
; AccumOffset: 16
; Occupancy: 8
; WaveLimiterHint : 0
; COMPUTE_PGM_RSRC2:SCRATCH_EN: 0
; COMPUTE_PGM_RSRC2:USER_SGPR: 2
; COMPUTE_PGM_RSRC2:TRAP_HANDLER: 0
; COMPUTE_PGM_RSRC2:TGID_X_EN: 1
; COMPUTE_PGM_RSRC2:TGID_Y_EN: 1
; COMPUTE_PGM_RSRC2:TGID_Z_EN: 0
; COMPUTE_PGM_RSRC2:TIDIG_COMP_CNT: 0
; COMPUTE_PGM_RSRC3_GFX90A:ACCUM_OFFSET: 3
; COMPUTE_PGM_RSRC3_GFX90A:TG_SPLIT: 0
	.section	.text._ZN9rocsparseL11copy_kernelILj256EiiEEvlPKT0_PT1_21rocsparse_index_base_S6_,"axG",@progbits,_ZN9rocsparseL11copy_kernelILj256EiiEEvlPKT0_PT1_21rocsparse_index_base_S6_,comdat
	.globl	_ZN9rocsparseL11copy_kernelILj256EiiEEvlPKT0_PT1_21rocsparse_index_base_S6_ ; -- Begin function _ZN9rocsparseL11copy_kernelILj256EiiEEvlPKT0_PT1_21rocsparse_index_base_S6_
	.p2align	8
	.type	_ZN9rocsparseL11copy_kernelILj256EiiEEvlPKT0_PT1_21rocsparse_index_base_S6_,@function
_ZN9rocsparseL11copy_kernelILj256EiiEEvlPKT0_PT1_21rocsparse_index_base_S6_: ; @_ZN9rocsparseL11copy_kernelILj256EiiEEvlPKT0_PT1_21rocsparse_index_base_S6_
; %bb.0:
	s_load_dwordx4 s[4:7], s[0:1], 0x0
	v_lshl_or_b32 v0, s2, 8, v0
	v_mov_b32_e32 v1, 0
	s_waitcnt lgkmcnt(0)
	v_cmp_gt_i64_e32 vcc, s[4:5], v[0:1]
	s_and_saveexec_b64 s[2:3], vcc
	s_cbranch_execz .LBB74_2
; %bb.1:
	v_lshlrev_b64 v[0:1], 2, v[0:1]
	v_lshl_add_u64 v[2:3], s[6:7], 0, v[0:1]
	global_load_dword v2, v[2:3], off
	s_load_dwordx4 s[0:3], s[0:1], 0x10
	s_waitcnt lgkmcnt(0)
	s_sub_i32 s2, s3, s2
	v_lshl_add_u64 v[0:1], s[0:1], 0, v[0:1]
	s_waitcnt vmcnt(0)
	v_add_u32_e32 v2, s2, v2
	global_store_dword v[0:1], v2, off
.LBB74_2:
	s_endpgm
	.section	.rodata,"a",@progbits
	.p2align	6, 0x0
	.amdhsa_kernel _ZN9rocsparseL11copy_kernelILj256EiiEEvlPKT0_PT1_21rocsparse_index_base_S6_
		.amdhsa_group_segment_fixed_size 0
		.amdhsa_private_segment_fixed_size 0
		.amdhsa_kernarg_size 32
		.amdhsa_user_sgpr_count 2
		.amdhsa_user_sgpr_dispatch_ptr 0
		.amdhsa_user_sgpr_queue_ptr 0
		.amdhsa_user_sgpr_kernarg_segment_ptr 1
		.amdhsa_user_sgpr_dispatch_id 0
		.amdhsa_user_sgpr_kernarg_preload_length 0
		.amdhsa_user_sgpr_kernarg_preload_offset 0
		.amdhsa_user_sgpr_private_segment_size 0
		.amdhsa_uses_dynamic_stack 0
		.amdhsa_enable_private_segment 0
		.amdhsa_system_sgpr_workgroup_id_x 1
		.amdhsa_system_sgpr_workgroup_id_y 0
		.amdhsa_system_sgpr_workgroup_id_z 0
		.amdhsa_system_sgpr_workgroup_info 0
		.amdhsa_system_vgpr_workitem_id 0
		.amdhsa_next_free_vgpr 4
		.amdhsa_next_free_sgpr 8
		.amdhsa_accum_offset 4
		.amdhsa_reserve_vcc 1
		.amdhsa_float_round_mode_32 0
		.amdhsa_float_round_mode_16_64 0
		.amdhsa_float_denorm_mode_32 3
		.amdhsa_float_denorm_mode_16_64 3
		.amdhsa_dx10_clamp 1
		.amdhsa_ieee_mode 1
		.amdhsa_fp16_overflow 0
		.amdhsa_tg_split 0
		.amdhsa_exception_fp_ieee_invalid_op 0
		.amdhsa_exception_fp_denorm_src 0
		.amdhsa_exception_fp_ieee_div_zero 0
		.amdhsa_exception_fp_ieee_overflow 0
		.amdhsa_exception_fp_ieee_underflow 0
		.amdhsa_exception_fp_ieee_inexact 0
		.amdhsa_exception_int_div_zero 0
	.end_amdhsa_kernel
	.section	.text._ZN9rocsparseL11copy_kernelILj256EiiEEvlPKT0_PT1_21rocsparse_index_base_S6_,"axG",@progbits,_ZN9rocsparseL11copy_kernelILj256EiiEEvlPKT0_PT1_21rocsparse_index_base_S6_,comdat
.Lfunc_end74:
	.size	_ZN9rocsparseL11copy_kernelILj256EiiEEvlPKT0_PT1_21rocsparse_index_base_S6_, .Lfunc_end74-_ZN9rocsparseL11copy_kernelILj256EiiEEvlPKT0_PT1_21rocsparse_index_base_S6_
                                        ; -- End function
	.set _ZN9rocsparseL11copy_kernelILj256EiiEEvlPKT0_PT1_21rocsparse_index_base_S6_.num_vgpr, 4
	.set _ZN9rocsparseL11copy_kernelILj256EiiEEvlPKT0_PT1_21rocsparse_index_base_S6_.num_agpr, 0
	.set _ZN9rocsparseL11copy_kernelILj256EiiEEvlPKT0_PT1_21rocsparse_index_base_S6_.numbered_sgpr, 8
	.set _ZN9rocsparseL11copy_kernelILj256EiiEEvlPKT0_PT1_21rocsparse_index_base_S6_.num_named_barrier, 0
	.set _ZN9rocsparseL11copy_kernelILj256EiiEEvlPKT0_PT1_21rocsparse_index_base_S6_.private_seg_size, 0
	.set _ZN9rocsparseL11copy_kernelILj256EiiEEvlPKT0_PT1_21rocsparse_index_base_S6_.uses_vcc, 1
	.set _ZN9rocsparseL11copy_kernelILj256EiiEEvlPKT0_PT1_21rocsparse_index_base_S6_.uses_flat_scratch, 0
	.set _ZN9rocsparseL11copy_kernelILj256EiiEEvlPKT0_PT1_21rocsparse_index_base_S6_.has_dyn_sized_stack, 0
	.set _ZN9rocsparseL11copy_kernelILj256EiiEEvlPKT0_PT1_21rocsparse_index_base_S6_.has_recursion, 0
	.set _ZN9rocsparseL11copy_kernelILj256EiiEEvlPKT0_PT1_21rocsparse_index_base_S6_.has_indirect_call, 0
	.section	.AMDGPU.csdata,"",@progbits
; Kernel info:
; codeLenInByte = 104
; TotalNumSgprs: 14
; NumVgprs: 4
; NumAgprs: 0
; TotalNumVgprs: 4
; ScratchSize: 0
; MemoryBound: 0
; FloatMode: 240
; IeeeMode: 1
; LDSByteSize: 0 bytes/workgroup (compile time only)
; SGPRBlocks: 1
; VGPRBlocks: 0
; NumSGPRsForWavesPerEU: 14
; NumVGPRsForWavesPerEU: 4
; AccumOffset: 4
; Occupancy: 8
; WaveLimiterHint : 0
; COMPUTE_PGM_RSRC2:SCRATCH_EN: 0
; COMPUTE_PGM_RSRC2:USER_SGPR: 2
; COMPUTE_PGM_RSRC2:TRAP_HANDLER: 0
; COMPUTE_PGM_RSRC2:TGID_X_EN: 1
; COMPUTE_PGM_RSRC2:TGID_Y_EN: 0
; COMPUTE_PGM_RSRC2:TGID_Z_EN: 0
; COMPUTE_PGM_RSRC2:TIDIG_COMP_CNT: 0
; COMPUTE_PGM_RSRC3_GFX90A:ACCUM_OFFSET: 0
; COMPUTE_PGM_RSRC3_GFX90A:TG_SPLIT: 0
	.section	.text._ZN9rocsparseL11copy_kernelILj256EilEEvlPKT0_PT1_21rocsparse_index_base_S6_,"axG",@progbits,_ZN9rocsparseL11copy_kernelILj256EilEEvlPKT0_PT1_21rocsparse_index_base_S6_,comdat
	.globl	_ZN9rocsparseL11copy_kernelILj256EilEEvlPKT0_PT1_21rocsparse_index_base_S6_ ; -- Begin function _ZN9rocsparseL11copy_kernelILj256EilEEvlPKT0_PT1_21rocsparse_index_base_S6_
	.p2align	8
	.type	_ZN9rocsparseL11copy_kernelILj256EilEEvlPKT0_PT1_21rocsparse_index_base_S6_,@function
_ZN9rocsparseL11copy_kernelILj256EilEEvlPKT0_PT1_21rocsparse_index_base_S6_: ; @_ZN9rocsparseL11copy_kernelILj256EilEEvlPKT0_PT1_21rocsparse_index_base_S6_
; %bb.0:
	s_load_dwordx4 s[4:7], s[0:1], 0x0
	v_lshl_or_b32 v0, s2, 8, v0
	v_mov_b32_e32 v1, 0
	s_waitcnt lgkmcnt(0)
	v_cmp_gt_i64_e32 vcc, s[4:5], v[0:1]
	s_and_saveexec_b64 s[2:3], vcc
	s_cbranch_execz .LBB75_2
; %bb.1:
	v_mov_b32_e32 v2, s6
	v_mov_b32_e32 v3, s7
	v_lshl_add_u64 v[2:3], v[0:1], 2, v[2:3]
	global_load_dword v4, v[2:3], off
	s_load_dwordx4 s[0:3], s[0:1], 0x10
	s_waitcnt lgkmcnt(0)
	v_mov_b32_e32 v2, s0
	v_mov_b32_e32 v3, s1
	s_sub_i32 s0, s3, s2
	v_lshl_add_u64 v[0:1], v[0:1], 3, v[2:3]
	s_waitcnt vmcnt(0)
	v_add_u32_e32 v2, s0, v4
	v_ashrrev_i32_e32 v3, 31, v2
	global_store_dwordx2 v[0:1], v[2:3], off
.LBB75_2:
	s_endpgm
	.section	.rodata,"a",@progbits
	.p2align	6, 0x0
	.amdhsa_kernel _ZN9rocsparseL11copy_kernelILj256EilEEvlPKT0_PT1_21rocsparse_index_base_S6_
		.amdhsa_group_segment_fixed_size 0
		.amdhsa_private_segment_fixed_size 0
		.amdhsa_kernarg_size 32
		.amdhsa_user_sgpr_count 2
		.amdhsa_user_sgpr_dispatch_ptr 0
		.amdhsa_user_sgpr_queue_ptr 0
		.amdhsa_user_sgpr_kernarg_segment_ptr 1
		.amdhsa_user_sgpr_dispatch_id 0
		.amdhsa_user_sgpr_kernarg_preload_length 0
		.amdhsa_user_sgpr_kernarg_preload_offset 0
		.amdhsa_user_sgpr_private_segment_size 0
		.amdhsa_uses_dynamic_stack 0
		.amdhsa_enable_private_segment 0
		.amdhsa_system_sgpr_workgroup_id_x 1
		.amdhsa_system_sgpr_workgroup_id_y 0
		.amdhsa_system_sgpr_workgroup_id_z 0
		.amdhsa_system_sgpr_workgroup_info 0
		.amdhsa_system_vgpr_workitem_id 0
		.amdhsa_next_free_vgpr 5
		.amdhsa_next_free_sgpr 8
		.amdhsa_accum_offset 8
		.amdhsa_reserve_vcc 1
		.amdhsa_float_round_mode_32 0
		.amdhsa_float_round_mode_16_64 0
		.amdhsa_float_denorm_mode_32 3
		.amdhsa_float_denorm_mode_16_64 3
		.amdhsa_dx10_clamp 1
		.amdhsa_ieee_mode 1
		.amdhsa_fp16_overflow 0
		.amdhsa_tg_split 0
		.amdhsa_exception_fp_ieee_invalid_op 0
		.amdhsa_exception_fp_denorm_src 0
		.amdhsa_exception_fp_ieee_div_zero 0
		.amdhsa_exception_fp_ieee_overflow 0
		.amdhsa_exception_fp_ieee_underflow 0
		.amdhsa_exception_fp_ieee_inexact 0
		.amdhsa_exception_int_div_zero 0
	.end_amdhsa_kernel
	.section	.text._ZN9rocsparseL11copy_kernelILj256EilEEvlPKT0_PT1_21rocsparse_index_base_S6_,"axG",@progbits,_ZN9rocsparseL11copy_kernelILj256EilEEvlPKT0_PT1_21rocsparse_index_base_S6_,comdat
.Lfunc_end75:
	.size	_ZN9rocsparseL11copy_kernelILj256EilEEvlPKT0_PT1_21rocsparse_index_base_S6_, .Lfunc_end75-_ZN9rocsparseL11copy_kernelILj256EilEEvlPKT0_PT1_21rocsparse_index_base_S6_
                                        ; -- End function
	.set _ZN9rocsparseL11copy_kernelILj256EilEEvlPKT0_PT1_21rocsparse_index_base_S6_.num_vgpr, 5
	.set _ZN9rocsparseL11copy_kernelILj256EilEEvlPKT0_PT1_21rocsparse_index_base_S6_.num_agpr, 0
	.set _ZN9rocsparseL11copy_kernelILj256EilEEvlPKT0_PT1_21rocsparse_index_base_S6_.numbered_sgpr, 8
	.set _ZN9rocsparseL11copy_kernelILj256EilEEvlPKT0_PT1_21rocsparse_index_base_S6_.num_named_barrier, 0
	.set _ZN9rocsparseL11copy_kernelILj256EilEEvlPKT0_PT1_21rocsparse_index_base_S6_.private_seg_size, 0
	.set _ZN9rocsparseL11copy_kernelILj256EilEEvlPKT0_PT1_21rocsparse_index_base_S6_.uses_vcc, 1
	.set _ZN9rocsparseL11copy_kernelILj256EilEEvlPKT0_PT1_21rocsparse_index_base_S6_.uses_flat_scratch, 0
	.set _ZN9rocsparseL11copy_kernelILj256EilEEvlPKT0_PT1_21rocsparse_index_base_S6_.has_dyn_sized_stack, 0
	.set _ZN9rocsparseL11copy_kernelILj256EilEEvlPKT0_PT1_21rocsparse_index_base_S6_.has_recursion, 0
	.set _ZN9rocsparseL11copy_kernelILj256EilEEvlPKT0_PT1_21rocsparse_index_base_S6_.has_indirect_call, 0
	.section	.AMDGPU.csdata,"",@progbits
; Kernel info:
; codeLenInByte = 116
; TotalNumSgprs: 14
; NumVgprs: 5
; NumAgprs: 0
; TotalNumVgprs: 5
; ScratchSize: 0
; MemoryBound: 0
; FloatMode: 240
; IeeeMode: 1
; LDSByteSize: 0 bytes/workgroup (compile time only)
; SGPRBlocks: 1
; VGPRBlocks: 0
; NumSGPRsForWavesPerEU: 14
; NumVGPRsForWavesPerEU: 5
; AccumOffset: 8
; Occupancy: 8
; WaveLimiterHint : 0
; COMPUTE_PGM_RSRC2:SCRATCH_EN: 0
; COMPUTE_PGM_RSRC2:USER_SGPR: 2
; COMPUTE_PGM_RSRC2:TRAP_HANDLER: 0
; COMPUTE_PGM_RSRC2:TGID_X_EN: 1
; COMPUTE_PGM_RSRC2:TGID_Y_EN: 0
; COMPUTE_PGM_RSRC2:TGID_Z_EN: 0
; COMPUTE_PGM_RSRC2:TIDIG_COMP_CNT: 0
; COMPUTE_PGM_RSRC3_GFX90A:ACCUM_OFFSET: 1
; COMPUTE_PGM_RSRC3_GFX90A:TG_SPLIT: 0
	.section	.text._ZN9rocsparseL11copy_kernelILj256EliEEvlPKT0_PT1_21rocsparse_index_base_S6_,"axG",@progbits,_ZN9rocsparseL11copy_kernelILj256EliEEvlPKT0_PT1_21rocsparse_index_base_S6_,comdat
	.globl	_ZN9rocsparseL11copy_kernelILj256EliEEvlPKT0_PT1_21rocsparse_index_base_S6_ ; -- Begin function _ZN9rocsparseL11copy_kernelILj256EliEEvlPKT0_PT1_21rocsparse_index_base_S6_
	.p2align	8
	.type	_ZN9rocsparseL11copy_kernelILj256EliEEvlPKT0_PT1_21rocsparse_index_base_S6_,@function
_ZN9rocsparseL11copy_kernelILj256EliEEvlPKT0_PT1_21rocsparse_index_base_S6_: ; @_ZN9rocsparseL11copy_kernelILj256EliEEvlPKT0_PT1_21rocsparse_index_base_S6_
; %bb.0:
	s_load_dwordx4 s[4:7], s[0:1], 0x0
	v_lshl_or_b32 v0, s2, 8, v0
	v_mov_b32_e32 v1, 0
	s_waitcnt lgkmcnt(0)
	v_cmp_gt_i64_e32 vcc, s[4:5], v[0:1]
	s_and_saveexec_b64 s[2:3], vcc
	s_cbranch_execz .LBB76_2
; %bb.1:
	v_mov_b32_e32 v2, s6
	v_mov_b32_e32 v3, s7
	v_lshl_add_u64 v[2:3], v[0:1], 3, v[2:3]
	global_load_dword v4, v[2:3], off
	s_load_dwordx4 s[0:3], s[0:1], 0x10
	s_waitcnt lgkmcnt(0)
	v_mov_b32_e32 v2, s0
	v_mov_b32_e32 v3, s1
	s_sub_i32 s0, s3, s2
	v_lshl_add_u64 v[0:1], v[0:1], 2, v[2:3]
	s_waitcnt vmcnt(0)
	v_add_u32_e32 v2, s0, v4
	global_store_dword v[0:1], v2, off
.LBB76_2:
	s_endpgm
	.section	.rodata,"a",@progbits
	.p2align	6, 0x0
	.amdhsa_kernel _ZN9rocsparseL11copy_kernelILj256EliEEvlPKT0_PT1_21rocsparse_index_base_S6_
		.amdhsa_group_segment_fixed_size 0
		.amdhsa_private_segment_fixed_size 0
		.amdhsa_kernarg_size 32
		.amdhsa_user_sgpr_count 2
		.amdhsa_user_sgpr_dispatch_ptr 0
		.amdhsa_user_sgpr_queue_ptr 0
		.amdhsa_user_sgpr_kernarg_segment_ptr 1
		.amdhsa_user_sgpr_dispatch_id 0
		.amdhsa_user_sgpr_kernarg_preload_length 0
		.amdhsa_user_sgpr_kernarg_preload_offset 0
		.amdhsa_user_sgpr_private_segment_size 0
		.amdhsa_uses_dynamic_stack 0
		.amdhsa_enable_private_segment 0
		.amdhsa_system_sgpr_workgroup_id_x 1
		.amdhsa_system_sgpr_workgroup_id_y 0
		.amdhsa_system_sgpr_workgroup_id_z 0
		.amdhsa_system_sgpr_workgroup_info 0
		.amdhsa_system_vgpr_workitem_id 0
		.amdhsa_next_free_vgpr 5
		.amdhsa_next_free_sgpr 8
		.amdhsa_accum_offset 8
		.amdhsa_reserve_vcc 1
		.amdhsa_float_round_mode_32 0
		.amdhsa_float_round_mode_16_64 0
		.amdhsa_float_denorm_mode_32 3
		.amdhsa_float_denorm_mode_16_64 3
		.amdhsa_dx10_clamp 1
		.amdhsa_ieee_mode 1
		.amdhsa_fp16_overflow 0
		.amdhsa_tg_split 0
		.amdhsa_exception_fp_ieee_invalid_op 0
		.amdhsa_exception_fp_denorm_src 0
		.amdhsa_exception_fp_ieee_div_zero 0
		.amdhsa_exception_fp_ieee_overflow 0
		.amdhsa_exception_fp_ieee_underflow 0
		.amdhsa_exception_fp_ieee_inexact 0
		.amdhsa_exception_int_div_zero 0
	.end_amdhsa_kernel
	.section	.text._ZN9rocsparseL11copy_kernelILj256EliEEvlPKT0_PT1_21rocsparse_index_base_S6_,"axG",@progbits,_ZN9rocsparseL11copy_kernelILj256EliEEvlPKT0_PT1_21rocsparse_index_base_S6_,comdat
.Lfunc_end76:
	.size	_ZN9rocsparseL11copy_kernelILj256EliEEvlPKT0_PT1_21rocsparse_index_base_S6_, .Lfunc_end76-_ZN9rocsparseL11copy_kernelILj256EliEEvlPKT0_PT1_21rocsparse_index_base_S6_
                                        ; -- End function
	.set _ZN9rocsparseL11copy_kernelILj256EliEEvlPKT0_PT1_21rocsparse_index_base_S6_.num_vgpr, 5
	.set _ZN9rocsparseL11copy_kernelILj256EliEEvlPKT0_PT1_21rocsparse_index_base_S6_.num_agpr, 0
	.set _ZN9rocsparseL11copy_kernelILj256EliEEvlPKT0_PT1_21rocsparse_index_base_S6_.numbered_sgpr, 8
	.set _ZN9rocsparseL11copy_kernelILj256EliEEvlPKT0_PT1_21rocsparse_index_base_S6_.num_named_barrier, 0
	.set _ZN9rocsparseL11copy_kernelILj256EliEEvlPKT0_PT1_21rocsparse_index_base_S6_.private_seg_size, 0
	.set _ZN9rocsparseL11copy_kernelILj256EliEEvlPKT0_PT1_21rocsparse_index_base_S6_.uses_vcc, 1
	.set _ZN9rocsparseL11copy_kernelILj256EliEEvlPKT0_PT1_21rocsparse_index_base_S6_.uses_flat_scratch, 0
	.set _ZN9rocsparseL11copy_kernelILj256EliEEvlPKT0_PT1_21rocsparse_index_base_S6_.has_dyn_sized_stack, 0
	.set _ZN9rocsparseL11copy_kernelILj256EliEEvlPKT0_PT1_21rocsparse_index_base_S6_.has_recursion, 0
	.set _ZN9rocsparseL11copy_kernelILj256EliEEvlPKT0_PT1_21rocsparse_index_base_S6_.has_indirect_call, 0
	.section	.AMDGPU.csdata,"",@progbits
; Kernel info:
; codeLenInByte = 112
; TotalNumSgprs: 14
; NumVgprs: 5
; NumAgprs: 0
; TotalNumVgprs: 5
; ScratchSize: 0
; MemoryBound: 0
; FloatMode: 240
; IeeeMode: 1
; LDSByteSize: 0 bytes/workgroup (compile time only)
; SGPRBlocks: 1
; VGPRBlocks: 0
; NumSGPRsForWavesPerEU: 14
; NumVGPRsForWavesPerEU: 5
; AccumOffset: 8
; Occupancy: 8
; WaveLimiterHint : 0
; COMPUTE_PGM_RSRC2:SCRATCH_EN: 0
; COMPUTE_PGM_RSRC2:USER_SGPR: 2
; COMPUTE_PGM_RSRC2:TRAP_HANDLER: 0
; COMPUTE_PGM_RSRC2:TGID_X_EN: 1
; COMPUTE_PGM_RSRC2:TGID_Y_EN: 0
; COMPUTE_PGM_RSRC2:TGID_Z_EN: 0
; COMPUTE_PGM_RSRC2:TIDIG_COMP_CNT: 0
; COMPUTE_PGM_RSRC3_GFX90A:ACCUM_OFFSET: 1
; COMPUTE_PGM_RSRC3_GFX90A:TG_SPLIT: 0
	.section	.text._ZN9rocsparseL11copy_kernelILj256EllEEvlPKT0_PT1_21rocsparse_index_base_S6_,"axG",@progbits,_ZN9rocsparseL11copy_kernelILj256EllEEvlPKT0_PT1_21rocsparse_index_base_S6_,comdat
	.globl	_ZN9rocsparseL11copy_kernelILj256EllEEvlPKT0_PT1_21rocsparse_index_base_S6_ ; -- Begin function _ZN9rocsparseL11copy_kernelILj256EllEEvlPKT0_PT1_21rocsparse_index_base_S6_
	.p2align	8
	.type	_ZN9rocsparseL11copy_kernelILj256EllEEvlPKT0_PT1_21rocsparse_index_base_S6_,@function
_ZN9rocsparseL11copy_kernelILj256EllEEvlPKT0_PT1_21rocsparse_index_base_S6_: ; @_ZN9rocsparseL11copy_kernelILj256EllEEvlPKT0_PT1_21rocsparse_index_base_S6_
; %bb.0:
	s_load_dwordx4 s[4:7], s[0:1], 0x0
	v_lshl_or_b32 v0, s2, 8, v0
	v_mov_b32_e32 v1, 0
	s_waitcnt lgkmcnt(0)
	v_cmp_gt_i64_e32 vcc, s[4:5], v[0:1]
	s_and_saveexec_b64 s[2:3], vcc
	s_cbranch_execz .LBB77_2
; %bb.1:
	v_lshlrev_b64 v[0:1], 3, v[0:1]
	v_lshl_add_u64 v[2:3], s[6:7], 0, v[0:1]
	global_load_dwordx2 v[2:3], v[2:3], off
	s_load_dwordx4 s[0:3], s[0:1], 0x10
	s_waitcnt lgkmcnt(0)
	s_sub_u32 s2, s3, s2
	s_subb_u32 s3, 0, 0
	v_lshl_add_u64 v[0:1], s[0:1], 0, v[0:1]
	s_waitcnt vmcnt(0)
	v_lshl_add_u64 v[2:3], s[2:3], 0, v[2:3]
	global_store_dwordx2 v[0:1], v[2:3], off
.LBB77_2:
	s_endpgm
	.section	.rodata,"a",@progbits
	.p2align	6, 0x0
	.amdhsa_kernel _ZN9rocsparseL11copy_kernelILj256EllEEvlPKT0_PT1_21rocsparse_index_base_S6_
		.amdhsa_group_segment_fixed_size 0
		.amdhsa_private_segment_fixed_size 0
		.amdhsa_kernarg_size 32
		.amdhsa_user_sgpr_count 2
		.amdhsa_user_sgpr_dispatch_ptr 0
		.amdhsa_user_sgpr_queue_ptr 0
		.amdhsa_user_sgpr_kernarg_segment_ptr 1
		.amdhsa_user_sgpr_dispatch_id 0
		.amdhsa_user_sgpr_kernarg_preload_length 0
		.amdhsa_user_sgpr_kernarg_preload_offset 0
		.amdhsa_user_sgpr_private_segment_size 0
		.amdhsa_uses_dynamic_stack 0
		.amdhsa_enable_private_segment 0
		.amdhsa_system_sgpr_workgroup_id_x 1
		.amdhsa_system_sgpr_workgroup_id_y 0
		.amdhsa_system_sgpr_workgroup_id_z 0
		.amdhsa_system_sgpr_workgroup_info 0
		.amdhsa_system_vgpr_workitem_id 0
		.amdhsa_next_free_vgpr 4
		.amdhsa_next_free_sgpr 8
		.amdhsa_accum_offset 4
		.amdhsa_reserve_vcc 1
		.amdhsa_float_round_mode_32 0
		.amdhsa_float_round_mode_16_64 0
		.amdhsa_float_denorm_mode_32 3
		.amdhsa_float_denorm_mode_16_64 3
		.amdhsa_dx10_clamp 1
		.amdhsa_ieee_mode 1
		.amdhsa_fp16_overflow 0
		.amdhsa_tg_split 0
		.amdhsa_exception_fp_ieee_invalid_op 0
		.amdhsa_exception_fp_denorm_src 0
		.amdhsa_exception_fp_ieee_div_zero 0
		.amdhsa_exception_fp_ieee_overflow 0
		.amdhsa_exception_fp_ieee_underflow 0
		.amdhsa_exception_fp_ieee_inexact 0
		.amdhsa_exception_int_div_zero 0
	.end_amdhsa_kernel
	.section	.text._ZN9rocsparseL11copy_kernelILj256EllEEvlPKT0_PT1_21rocsparse_index_base_S6_,"axG",@progbits,_ZN9rocsparseL11copy_kernelILj256EllEEvlPKT0_PT1_21rocsparse_index_base_S6_,comdat
.Lfunc_end77:
	.size	_ZN9rocsparseL11copy_kernelILj256EllEEvlPKT0_PT1_21rocsparse_index_base_S6_, .Lfunc_end77-_ZN9rocsparseL11copy_kernelILj256EllEEvlPKT0_PT1_21rocsparse_index_base_S6_
                                        ; -- End function
	.set _ZN9rocsparseL11copy_kernelILj256EllEEvlPKT0_PT1_21rocsparse_index_base_S6_.num_vgpr, 4
	.set _ZN9rocsparseL11copy_kernelILj256EllEEvlPKT0_PT1_21rocsparse_index_base_S6_.num_agpr, 0
	.set _ZN9rocsparseL11copy_kernelILj256EllEEvlPKT0_PT1_21rocsparse_index_base_S6_.numbered_sgpr, 8
	.set _ZN9rocsparseL11copy_kernelILj256EllEEvlPKT0_PT1_21rocsparse_index_base_S6_.num_named_barrier, 0
	.set _ZN9rocsparseL11copy_kernelILj256EllEEvlPKT0_PT1_21rocsparse_index_base_S6_.private_seg_size, 0
	.set _ZN9rocsparseL11copy_kernelILj256EllEEvlPKT0_PT1_21rocsparse_index_base_S6_.uses_vcc, 1
	.set _ZN9rocsparseL11copy_kernelILj256EllEEvlPKT0_PT1_21rocsparse_index_base_S6_.uses_flat_scratch, 0
	.set _ZN9rocsparseL11copy_kernelILj256EllEEvlPKT0_PT1_21rocsparse_index_base_S6_.has_dyn_sized_stack, 0
	.set _ZN9rocsparseL11copy_kernelILj256EllEEvlPKT0_PT1_21rocsparse_index_base_S6_.has_recursion, 0
	.set _ZN9rocsparseL11copy_kernelILj256EllEEvlPKT0_PT1_21rocsparse_index_base_S6_.has_indirect_call, 0
	.section	.AMDGPU.csdata,"",@progbits
; Kernel info:
; codeLenInByte = 112
; TotalNumSgprs: 14
; NumVgprs: 4
; NumAgprs: 0
; TotalNumVgprs: 4
; ScratchSize: 0
; MemoryBound: 0
; FloatMode: 240
; IeeeMode: 1
; LDSByteSize: 0 bytes/workgroup (compile time only)
; SGPRBlocks: 1
; VGPRBlocks: 0
; NumSGPRsForWavesPerEU: 14
; NumVGPRsForWavesPerEU: 4
; AccumOffset: 4
; Occupancy: 8
; WaveLimiterHint : 0
; COMPUTE_PGM_RSRC2:SCRATCH_EN: 0
; COMPUTE_PGM_RSRC2:USER_SGPR: 2
; COMPUTE_PGM_RSRC2:TRAP_HANDLER: 0
; COMPUTE_PGM_RSRC2:TGID_X_EN: 1
; COMPUTE_PGM_RSRC2:TGID_Y_EN: 0
; COMPUTE_PGM_RSRC2:TGID_Z_EN: 0
; COMPUTE_PGM_RSRC2:TIDIG_COMP_CNT: 0
; COMPUTE_PGM_RSRC3_GFX90A:ACCUM_OFFSET: 0
; COMPUTE_PGM_RSRC3_GFX90A:TG_SPLIT: 0
	.section	.text._ZN9rocsparseL21copy_and_scale_kernelILj256EfEEvlPKT0_PS1_NS_24const_host_device_scalarIS1_EEb,"axG",@progbits,_ZN9rocsparseL21copy_and_scale_kernelILj256EfEEvlPKT0_PS1_NS_24const_host_device_scalarIS1_EEb,comdat
	.globl	_ZN9rocsparseL21copy_and_scale_kernelILj256EfEEvlPKT0_PS1_NS_24const_host_device_scalarIS1_EEb ; -- Begin function _ZN9rocsparseL21copy_and_scale_kernelILj256EfEEvlPKT0_PS1_NS_24const_host_device_scalarIS1_EEb
	.p2align	8
	.type	_ZN9rocsparseL21copy_and_scale_kernelILj256EfEEvlPKT0_PS1_NS_24const_host_device_scalarIS1_EEb,@function
_ZN9rocsparseL21copy_and_scale_kernelILj256EfEEvlPKT0_PS1_NS_24const_host_device_scalarIS1_EEb: ; @_ZN9rocsparseL21copy_and_scale_kernelILj256EfEEvlPKT0_PS1_NS_24const_host_device_scalarIS1_EEb
; %bb.0:
	s_load_dword s3, s[0:1], 0x20
	s_load_dwordx8 s[4:11], s[0:1], 0x0
	s_waitcnt lgkmcnt(0)
	s_bitcmp1_b32 s3, 0
	s_cselect_b64 s[0:1], -1, 0
	s_and_b64 vcc, exec, s[0:1]
	s_cbranch_vccnz .LBB78_2
; %bb.1:
	s_load_dword s10, s[10:11], 0x0
.LBB78_2:
	v_lshl_or_b32 v0, s2, 8, v0
	v_mov_b32_e32 v1, 0
	v_cmp_gt_i64_e32 vcc, s[4:5], v[0:1]
	s_and_saveexec_b64 s[0:1], vcc
	s_cbranch_execz .LBB78_6
; %bb.3:
	s_waitcnt lgkmcnt(0)
	v_cmp_eq_f32_e64 s[0:1], s10, 0
	s_and_b64 vcc, exec, s[0:1]
	v_mov_b32_e32 v2, v1
	s_cbranch_vccnz .LBB78_5
; %bb.4:
	v_mov_b32_e32 v2, s6
	v_mov_b32_e32 v3, s7
	v_lshl_add_u64 v[2:3], v[0:1], 2, v[2:3]
	global_load_dword v2, v[2:3], off
	s_waitcnt vmcnt(0)
	v_mul_f32_e32 v2, s10, v2
.LBB78_5:
	v_mov_b32_e32 v4, s8
	v_mov_b32_e32 v5, s9
	v_lshl_add_u64 v[0:1], v[0:1], 2, v[4:5]
	global_store_dword v[0:1], v2, off
.LBB78_6:
	s_endpgm
	.section	.rodata,"a",@progbits
	.p2align	6, 0x0
	.amdhsa_kernel _ZN9rocsparseL21copy_and_scale_kernelILj256EfEEvlPKT0_PS1_NS_24const_host_device_scalarIS1_EEb
		.amdhsa_group_segment_fixed_size 0
		.amdhsa_private_segment_fixed_size 0
		.amdhsa_kernarg_size 36
		.amdhsa_user_sgpr_count 2
		.amdhsa_user_sgpr_dispatch_ptr 0
		.amdhsa_user_sgpr_queue_ptr 0
		.amdhsa_user_sgpr_kernarg_segment_ptr 1
		.amdhsa_user_sgpr_dispatch_id 0
		.amdhsa_user_sgpr_kernarg_preload_length 0
		.amdhsa_user_sgpr_kernarg_preload_offset 0
		.amdhsa_user_sgpr_private_segment_size 0
		.amdhsa_uses_dynamic_stack 0
		.amdhsa_enable_private_segment 0
		.amdhsa_system_sgpr_workgroup_id_x 1
		.amdhsa_system_sgpr_workgroup_id_y 0
		.amdhsa_system_sgpr_workgroup_id_z 0
		.amdhsa_system_sgpr_workgroup_info 0
		.amdhsa_system_vgpr_workitem_id 0
		.amdhsa_next_free_vgpr 6
		.amdhsa_next_free_sgpr 12
		.amdhsa_accum_offset 8
		.amdhsa_reserve_vcc 1
		.amdhsa_float_round_mode_32 0
		.amdhsa_float_round_mode_16_64 0
		.amdhsa_float_denorm_mode_32 3
		.amdhsa_float_denorm_mode_16_64 3
		.amdhsa_dx10_clamp 1
		.amdhsa_ieee_mode 1
		.amdhsa_fp16_overflow 0
		.amdhsa_tg_split 0
		.amdhsa_exception_fp_ieee_invalid_op 0
		.amdhsa_exception_fp_denorm_src 0
		.amdhsa_exception_fp_ieee_div_zero 0
		.amdhsa_exception_fp_ieee_overflow 0
		.amdhsa_exception_fp_ieee_underflow 0
		.amdhsa_exception_fp_ieee_inexact 0
		.amdhsa_exception_int_div_zero 0
	.end_amdhsa_kernel
	.section	.text._ZN9rocsparseL21copy_and_scale_kernelILj256EfEEvlPKT0_PS1_NS_24const_host_device_scalarIS1_EEb,"axG",@progbits,_ZN9rocsparseL21copy_and_scale_kernelILj256EfEEvlPKT0_PS1_NS_24const_host_device_scalarIS1_EEb,comdat
.Lfunc_end78:
	.size	_ZN9rocsparseL21copy_and_scale_kernelILj256EfEEvlPKT0_PS1_NS_24const_host_device_scalarIS1_EEb, .Lfunc_end78-_ZN9rocsparseL21copy_and_scale_kernelILj256EfEEvlPKT0_PS1_NS_24const_host_device_scalarIS1_EEb
                                        ; -- End function
	.set _ZN9rocsparseL21copy_and_scale_kernelILj256EfEEvlPKT0_PS1_NS_24const_host_device_scalarIS1_EEb.num_vgpr, 6
	.set _ZN9rocsparseL21copy_and_scale_kernelILj256EfEEvlPKT0_PS1_NS_24const_host_device_scalarIS1_EEb.num_agpr, 0
	.set _ZN9rocsparseL21copy_and_scale_kernelILj256EfEEvlPKT0_PS1_NS_24const_host_device_scalarIS1_EEb.numbered_sgpr, 12
	.set _ZN9rocsparseL21copy_and_scale_kernelILj256EfEEvlPKT0_PS1_NS_24const_host_device_scalarIS1_EEb.num_named_barrier, 0
	.set _ZN9rocsparseL21copy_and_scale_kernelILj256EfEEvlPKT0_PS1_NS_24const_host_device_scalarIS1_EEb.private_seg_size, 0
	.set _ZN9rocsparseL21copy_and_scale_kernelILj256EfEEvlPKT0_PS1_NS_24const_host_device_scalarIS1_EEb.uses_vcc, 1
	.set _ZN9rocsparseL21copy_and_scale_kernelILj256EfEEvlPKT0_PS1_NS_24const_host_device_scalarIS1_EEb.uses_flat_scratch, 0
	.set _ZN9rocsparseL21copy_and_scale_kernelILj256EfEEvlPKT0_PS1_NS_24const_host_device_scalarIS1_EEb.has_dyn_sized_stack, 0
	.set _ZN9rocsparseL21copy_and_scale_kernelILj256EfEEvlPKT0_PS1_NS_24const_host_device_scalarIS1_EEb.has_recursion, 0
	.set _ZN9rocsparseL21copy_and_scale_kernelILj256EfEEvlPKT0_PS1_NS_24const_host_device_scalarIS1_EEb.has_indirect_call, 0
	.section	.AMDGPU.csdata,"",@progbits
; Kernel info:
; codeLenInByte = 152
; TotalNumSgprs: 18
; NumVgprs: 6
; NumAgprs: 0
; TotalNumVgprs: 6
; ScratchSize: 0
; MemoryBound: 0
; FloatMode: 240
; IeeeMode: 1
; LDSByteSize: 0 bytes/workgroup (compile time only)
; SGPRBlocks: 2
; VGPRBlocks: 0
; NumSGPRsForWavesPerEU: 18
; NumVGPRsForWavesPerEU: 6
; AccumOffset: 8
; Occupancy: 8
; WaveLimiterHint : 0
; COMPUTE_PGM_RSRC2:SCRATCH_EN: 0
; COMPUTE_PGM_RSRC2:USER_SGPR: 2
; COMPUTE_PGM_RSRC2:TRAP_HANDLER: 0
; COMPUTE_PGM_RSRC2:TGID_X_EN: 1
; COMPUTE_PGM_RSRC2:TGID_Y_EN: 0
; COMPUTE_PGM_RSRC2:TGID_Z_EN: 0
; COMPUTE_PGM_RSRC2:TIDIG_COMP_CNT: 0
; COMPUTE_PGM_RSRC3_GFX90A:ACCUM_OFFSET: 1
; COMPUTE_PGM_RSRC3_GFX90A:TG_SPLIT: 0
	.section	.text._ZN9rocsparseL21copy_and_scale_kernelILj256EdEEvlPKT0_PS1_NS_24const_host_device_scalarIS1_EEb,"axG",@progbits,_ZN9rocsparseL21copy_and_scale_kernelILj256EdEEvlPKT0_PS1_NS_24const_host_device_scalarIS1_EEb,comdat
	.globl	_ZN9rocsparseL21copy_and_scale_kernelILj256EdEEvlPKT0_PS1_NS_24const_host_device_scalarIS1_EEb ; -- Begin function _ZN9rocsparseL21copy_and_scale_kernelILj256EdEEvlPKT0_PS1_NS_24const_host_device_scalarIS1_EEb
	.p2align	8
	.type	_ZN9rocsparseL21copy_and_scale_kernelILj256EdEEvlPKT0_PS1_NS_24const_host_device_scalarIS1_EEb,@function
_ZN9rocsparseL21copy_and_scale_kernelILj256EdEEvlPKT0_PS1_NS_24const_host_device_scalarIS1_EEb: ; @_ZN9rocsparseL21copy_and_scale_kernelILj256EdEEvlPKT0_PS1_NS_24const_host_device_scalarIS1_EEb
; %bb.0:
	s_load_dword s3, s[0:1], 0x20
	s_load_dwordx8 s[4:11], s[0:1], 0x0
	s_waitcnt lgkmcnt(0)
	s_bitcmp1_b32 s3, 0
	s_cselect_b64 s[0:1], -1, 0
	s_and_b64 vcc, exec, s[0:1]
	v_mov_b64_e32 v[2:3], s[10:11]
	s_cbranch_vccnz .LBB79_2
; %bb.1:
	v_mov_b64_e32 v[2:3], s[10:11]
	flat_load_dwordx2 v[2:3], v[2:3]
.LBB79_2:
	v_lshl_or_b32 v0, s2, 8, v0
	v_mov_b32_e32 v1, 0
	v_cmp_gt_i64_e32 vcc, s[4:5], v[0:1]
	s_and_saveexec_b64 s[0:1], vcc
	s_cbranch_execz .LBB79_6
; %bb.3:
	v_mov_b64_e32 v[4:5], 0
	s_waitcnt vmcnt(0) lgkmcnt(0)
	v_cmp_neq_f64_e32 vcc, 0, v[2:3]
	s_and_saveexec_b64 s[0:1], vcc
	s_cbranch_execz .LBB79_5
; %bb.4:
	v_mov_b32_e32 v4, s6
	v_mov_b32_e32 v5, s7
	v_lshl_add_u64 v[4:5], v[0:1], 3, v[4:5]
	global_load_dwordx2 v[4:5], v[4:5], off
	s_waitcnt vmcnt(0)
	v_mul_f64 v[4:5], v[2:3], v[4:5]
.LBB79_5:
	s_or_b64 exec, exec, s[0:1]
	v_mov_b32_e32 v2, s8
	v_mov_b32_e32 v3, s9
	v_lshl_add_u64 v[0:1], v[0:1], 3, v[2:3]
	global_store_dwordx2 v[0:1], v[4:5], off
.LBB79_6:
	s_endpgm
	.section	.rodata,"a",@progbits
	.p2align	6, 0x0
	.amdhsa_kernel _ZN9rocsparseL21copy_and_scale_kernelILj256EdEEvlPKT0_PS1_NS_24const_host_device_scalarIS1_EEb
		.amdhsa_group_segment_fixed_size 0
		.amdhsa_private_segment_fixed_size 0
		.amdhsa_kernarg_size 36
		.amdhsa_user_sgpr_count 2
		.amdhsa_user_sgpr_dispatch_ptr 0
		.amdhsa_user_sgpr_queue_ptr 0
		.amdhsa_user_sgpr_kernarg_segment_ptr 1
		.amdhsa_user_sgpr_dispatch_id 0
		.amdhsa_user_sgpr_kernarg_preload_length 0
		.amdhsa_user_sgpr_kernarg_preload_offset 0
		.amdhsa_user_sgpr_private_segment_size 0
		.amdhsa_uses_dynamic_stack 0
		.amdhsa_enable_private_segment 0
		.amdhsa_system_sgpr_workgroup_id_x 1
		.amdhsa_system_sgpr_workgroup_id_y 0
		.amdhsa_system_sgpr_workgroup_id_z 0
		.amdhsa_system_sgpr_workgroup_info 0
		.amdhsa_system_vgpr_workitem_id 0
		.amdhsa_next_free_vgpr 6
		.amdhsa_next_free_sgpr 12
		.amdhsa_accum_offset 8
		.amdhsa_reserve_vcc 1
		.amdhsa_float_round_mode_32 0
		.amdhsa_float_round_mode_16_64 0
		.amdhsa_float_denorm_mode_32 3
		.amdhsa_float_denorm_mode_16_64 3
		.amdhsa_dx10_clamp 1
		.amdhsa_ieee_mode 1
		.amdhsa_fp16_overflow 0
		.amdhsa_tg_split 0
		.amdhsa_exception_fp_ieee_invalid_op 0
		.amdhsa_exception_fp_denorm_src 0
		.amdhsa_exception_fp_ieee_div_zero 0
		.amdhsa_exception_fp_ieee_overflow 0
		.amdhsa_exception_fp_ieee_underflow 0
		.amdhsa_exception_fp_ieee_inexact 0
		.amdhsa_exception_int_div_zero 0
	.end_amdhsa_kernel
	.section	.text._ZN9rocsparseL21copy_and_scale_kernelILj256EdEEvlPKT0_PS1_NS_24const_host_device_scalarIS1_EEb,"axG",@progbits,_ZN9rocsparseL21copy_and_scale_kernelILj256EdEEvlPKT0_PS1_NS_24const_host_device_scalarIS1_EEb,comdat
.Lfunc_end79:
	.size	_ZN9rocsparseL21copy_and_scale_kernelILj256EdEEvlPKT0_PS1_NS_24const_host_device_scalarIS1_EEb, .Lfunc_end79-_ZN9rocsparseL21copy_and_scale_kernelILj256EdEEvlPKT0_PS1_NS_24const_host_device_scalarIS1_EEb
                                        ; -- End function
	.set _ZN9rocsparseL21copy_and_scale_kernelILj256EdEEvlPKT0_PS1_NS_24const_host_device_scalarIS1_EEb.num_vgpr, 6
	.set _ZN9rocsparseL21copy_and_scale_kernelILj256EdEEvlPKT0_PS1_NS_24const_host_device_scalarIS1_EEb.num_agpr, 0
	.set _ZN9rocsparseL21copy_and_scale_kernelILj256EdEEvlPKT0_PS1_NS_24const_host_device_scalarIS1_EEb.numbered_sgpr, 12
	.set _ZN9rocsparseL21copy_and_scale_kernelILj256EdEEvlPKT0_PS1_NS_24const_host_device_scalarIS1_EEb.num_named_barrier, 0
	.set _ZN9rocsparseL21copy_and_scale_kernelILj256EdEEvlPKT0_PS1_NS_24const_host_device_scalarIS1_EEb.private_seg_size, 0
	.set _ZN9rocsparseL21copy_and_scale_kernelILj256EdEEvlPKT0_PS1_NS_24const_host_device_scalarIS1_EEb.uses_vcc, 1
	.set _ZN9rocsparseL21copy_and_scale_kernelILj256EdEEvlPKT0_PS1_NS_24const_host_device_scalarIS1_EEb.uses_flat_scratch, 0
	.set _ZN9rocsparseL21copy_and_scale_kernelILj256EdEEvlPKT0_PS1_NS_24const_host_device_scalarIS1_EEb.has_dyn_sized_stack, 0
	.set _ZN9rocsparseL21copy_and_scale_kernelILj256EdEEvlPKT0_PS1_NS_24const_host_device_scalarIS1_EEb.has_recursion, 0
	.set _ZN9rocsparseL21copy_and_scale_kernelILj256EdEEvlPKT0_PS1_NS_24const_host_device_scalarIS1_EEb.has_indirect_call, 0
	.section	.AMDGPU.csdata,"",@progbits
; Kernel info:
; codeLenInByte = 164
; TotalNumSgprs: 18
; NumVgprs: 6
; NumAgprs: 0
; TotalNumVgprs: 6
; ScratchSize: 0
; MemoryBound: 0
; FloatMode: 240
; IeeeMode: 1
; LDSByteSize: 0 bytes/workgroup (compile time only)
; SGPRBlocks: 2
; VGPRBlocks: 0
; NumSGPRsForWavesPerEU: 18
; NumVGPRsForWavesPerEU: 6
; AccumOffset: 8
; Occupancy: 8
; WaveLimiterHint : 0
; COMPUTE_PGM_RSRC2:SCRATCH_EN: 0
; COMPUTE_PGM_RSRC2:USER_SGPR: 2
; COMPUTE_PGM_RSRC2:TRAP_HANDLER: 0
; COMPUTE_PGM_RSRC2:TGID_X_EN: 1
; COMPUTE_PGM_RSRC2:TGID_Y_EN: 0
; COMPUTE_PGM_RSRC2:TGID_Z_EN: 0
; COMPUTE_PGM_RSRC2:TIDIG_COMP_CNT: 0
; COMPUTE_PGM_RSRC3_GFX90A:ACCUM_OFFSET: 1
; COMPUTE_PGM_RSRC3_GFX90A:TG_SPLIT: 0
	.section	.text._ZN9rocsparseL21copy_and_scale_kernelILj256E21rocsparse_complex_numIfEEEvlPKT0_PS3_NS_24const_host_device_scalarIS3_EEb,"axG",@progbits,_ZN9rocsparseL21copy_and_scale_kernelILj256E21rocsparse_complex_numIfEEEvlPKT0_PS3_NS_24const_host_device_scalarIS3_EEb,comdat
	.globl	_ZN9rocsparseL21copy_and_scale_kernelILj256E21rocsparse_complex_numIfEEEvlPKT0_PS3_NS_24const_host_device_scalarIS3_EEb ; -- Begin function _ZN9rocsparseL21copy_and_scale_kernelILj256E21rocsparse_complex_numIfEEEvlPKT0_PS3_NS_24const_host_device_scalarIS3_EEb
	.p2align	8
	.type	_ZN9rocsparseL21copy_and_scale_kernelILj256E21rocsparse_complex_numIfEEEvlPKT0_PS3_NS_24const_host_device_scalarIS3_EEb,@function
_ZN9rocsparseL21copy_and_scale_kernelILj256E21rocsparse_complex_numIfEEEvlPKT0_PS3_NS_24const_host_device_scalarIS3_EEb: ; @_ZN9rocsparseL21copy_and_scale_kernelILj256E21rocsparse_complex_numIfEEEvlPKT0_PS3_NS_24const_host_device_scalarIS3_EEb
; %bb.0:
	s_load_dword s3, s[0:1], 0x20
	s_load_dwordx8 s[4:11], s[0:1], 0x0
	s_waitcnt lgkmcnt(0)
	s_bitcmp1_b32 s3, 0
	s_cselect_b64 s[0:1], -1, 0
	s_xor_b64 s[12:13], s[0:1], -1
	s_and_b64 vcc, exec, s[0:1]
	s_mov_b32 s0, s10
	s_cbranch_vccnz .LBB80_2
; %bb.1:
	s_load_dword s0, s[10:11], 0x0
.LBB80_2:
	s_andn2_b64 vcc, exec, s[12:13]
	s_cbranch_vccnz .LBB80_4
; %bb.3:
	s_load_dword s11, s[10:11], 0x4
.LBB80_4:
	v_lshl_or_b32 v0, s2, 8, v0
	v_mov_b32_e32 v1, 0
	v_cmp_gt_i64_e32 vcc, s[4:5], v[0:1]
	s_and_saveexec_b64 s[2:3], vcc
	s_cbranch_execz .LBB80_9
; %bb.5:
	s_waitcnt lgkmcnt(0)
	v_cmp_eq_f32_e64 s[2:3], s0, 0
	v_cmp_eq_f32_e64 s[4:5], s11, 0
	s_and_b64 s[2:3], s[2:3], s[4:5]
	s_andn2_b64 vcc, exec, s[2:3]
	s_mov_b64 s[2:3], -1
	s_cbranch_vccz .LBB80_7
; %bb.6:
	v_lshlrev_b64 v[2:3], 3, v[0:1]
	v_lshl_add_u64 v[4:5], s[6:7], 0, v[2:3]
	global_load_dwordx2 v[4:5], v[4:5], off
	s_mov_b32 s2, s11
	v_lshl_add_u64 v[2:3], s[8:9], 0, v[2:3]
	s_waitcnt vmcnt(0)
	v_pk_mul_f32 v[6:7], s[2:3], v[4:5] op_sel:[0,1] op_sel_hi:[0,0] neg_lo:[0,1]
	v_pk_fma_f32 v[4:5], v[4:5], s[0:1], v[6:7] op_sel_hi:[1,0,1]
	global_store_dwordx2 v[2:3], v[4:5], off
	s_mov_b64 s[2:3], 0
.LBB80_7:
	s_andn2_b64 vcc, exec, s[2:3]
	s_cbranch_vccnz .LBB80_9
; %bb.8:
	v_mov_b32_e32 v2, 0
	v_lshl_add_u64 v[0:1], v[0:1], 3, s[8:9]
	v_mov_b32_e32 v3, v2
	global_store_dwordx2 v[0:1], v[2:3], off
.LBB80_9:
	s_endpgm
	.section	.rodata,"a",@progbits
	.p2align	6, 0x0
	.amdhsa_kernel _ZN9rocsparseL21copy_and_scale_kernelILj256E21rocsparse_complex_numIfEEEvlPKT0_PS3_NS_24const_host_device_scalarIS3_EEb
		.amdhsa_group_segment_fixed_size 0
		.amdhsa_private_segment_fixed_size 0
		.amdhsa_kernarg_size 36
		.amdhsa_user_sgpr_count 2
		.amdhsa_user_sgpr_dispatch_ptr 0
		.amdhsa_user_sgpr_queue_ptr 0
		.amdhsa_user_sgpr_kernarg_segment_ptr 1
		.amdhsa_user_sgpr_dispatch_id 0
		.amdhsa_user_sgpr_kernarg_preload_length 0
		.amdhsa_user_sgpr_kernarg_preload_offset 0
		.amdhsa_user_sgpr_private_segment_size 0
		.amdhsa_uses_dynamic_stack 0
		.amdhsa_enable_private_segment 0
		.amdhsa_system_sgpr_workgroup_id_x 1
		.amdhsa_system_sgpr_workgroup_id_y 0
		.amdhsa_system_sgpr_workgroup_id_z 0
		.amdhsa_system_sgpr_workgroup_info 0
		.amdhsa_system_vgpr_workitem_id 0
		.amdhsa_next_free_vgpr 8
		.amdhsa_next_free_sgpr 14
		.amdhsa_accum_offset 8
		.amdhsa_reserve_vcc 1
		.amdhsa_float_round_mode_32 0
		.amdhsa_float_round_mode_16_64 0
		.amdhsa_float_denorm_mode_32 3
		.amdhsa_float_denorm_mode_16_64 3
		.amdhsa_dx10_clamp 1
		.amdhsa_ieee_mode 1
		.amdhsa_fp16_overflow 0
		.amdhsa_tg_split 0
		.amdhsa_exception_fp_ieee_invalid_op 0
		.amdhsa_exception_fp_denorm_src 0
		.amdhsa_exception_fp_ieee_div_zero 0
		.amdhsa_exception_fp_ieee_overflow 0
		.amdhsa_exception_fp_ieee_underflow 0
		.amdhsa_exception_fp_ieee_inexact 0
		.amdhsa_exception_int_div_zero 0
	.end_amdhsa_kernel
	.section	.text._ZN9rocsparseL21copy_and_scale_kernelILj256E21rocsparse_complex_numIfEEEvlPKT0_PS3_NS_24const_host_device_scalarIS3_EEb,"axG",@progbits,_ZN9rocsparseL21copy_and_scale_kernelILj256E21rocsparse_complex_numIfEEEvlPKT0_PS3_NS_24const_host_device_scalarIS3_EEb,comdat
.Lfunc_end80:
	.size	_ZN9rocsparseL21copy_and_scale_kernelILj256E21rocsparse_complex_numIfEEEvlPKT0_PS3_NS_24const_host_device_scalarIS3_EEb, .Lfunc_end80-_ZN9rocsparseL21copy_and_scale_kernelILj256E21rocsparse_complex_numIfEEEvlPKT0_PS3_NS_24const_host_device_scalarIS3_EEb
                                        ; -- End function
	.set _ZN9rocsparseL21copy_and_scale_kernelILj256E21rocsparse_complex_numIfEEEvlPKT0_PS3_NS_24const_host_device_scalarIS3_EEb.num_vgpr, 8
	.set _ZN9rocsparseL21copy_and_scale_kernelILj256E21rocsparse_complex_numIfEEEvlPKT0_PS3_NS_24const_host_device_scalarIS3_EEb.num_agpr, 0
	.set _ZN9rocsparseL21copy_and_scale_kernelILj256E21rocsparse_complex_numIfEEEvlPKT0_PS3_NS_24const_host_device_scalarIS3_EEb.numbered_sgpr, 14
	.set _ZN9rocsparseL21copy_and_scale_kernelILj256E21rocsparse_complex_numIfEEEvlPKT0_PS3_NS_24const_host_device_scalarIS3_EEb.num_named_barrier, 0
	.set _ZN9rocsparseL21copy_and_scale_kernelILj256E21rocsparse_complex_numIfEEEvlPKT0_PS3_NS_24const_host_device_scalarIS3_EEb.private_seg_size, 0
	.set _ZN9rocsparseL21copy_and_scale_kernelILj256E21rocsparse_complex_numIfEEEvlPKT0_PS3_NS_24const_host_device_scalarIS3_EEb.uses_vcc, 1
	.set _ZN9rocsparseL21copy_and_scale_kernelILj256E21rocsparse_complex_numIfEEEvlPKT0_PS3_NS_24const_host_device_scalarIS3_EEb.uses_flat_scratch, 0
	.set _ZN9rocsparseL21copy_and_scale_kernelILj256E21rocsparse_complex_numIfEEEvlPKT0_PS3_NS_24const_host_device_scalarIS3_EEb.has_dyn_sized_stack, 0
	.set _ZN9rocsparseL21copy_and_scale_kernelILj256E21rocsparse_complex_numIfEEEvlPKT0_PS3_NS_24const_host_device_scalarIS3_EEb.has_recursion, 0
	.set _ZN9rocsparseL21copy_and_scale_kernelILj256E21rocsparse_complex_numIfEEEvlPKT0_PS3_NS_24const_host_device_scalarIS3_EEb.has_indirect_call, 0
	.section	.AMDGPU.csdata,"",@progbits
; Kernel info:
; codeLenInByte = 232
; TotalNumSgprs: 20
; NumVgprs: 8
; NumAgprs: 0
; TotalNumVgprs: 8
; ScratchSize: 0
; MemoryBound: 0
; FloatMode: 240
; IeeeMode: 1
; LDSByteSize: 0 bytes/workgroup (compile time only)
; SGPRBlocks: 2
; VGPRBlocks: 0
; NumSGPRsForWavesPerEU: 20
; NumVGPRsForWavesPerEU: 8
; AccumOffset: 8
; Occupancy: 8
; WaveLimiterHint : 0
; COMPUTE_PGM_RSRC2:SCRATCH_EN: 0
; COMPUTE_PGM_RSRC2:USER_SGPR: 2
; COMPUTE_PGM_RSRC2:TRAP_HANDLER: 0
; COMPUTE_PGM_RSRC2:TGID_X_EN: 1
; COMPUTE_PGM_RSRC2:TGID_Y_EN: 0
; COMPUTE_PGM_RSRC2:TGID_Z_EN: 0
; COMPUTE_PGM_RSRC2:TIDIG_COMP_CNT: 0
; COMPUTE_PGM_RSRC3_GFX90A:ACCUM_OFFSET: 1
; COMPUTE_PGM_RSRC3_GFX90A:TG_SPLIT: 0
	.section	.text._ZN9rocsparseL21copy_and_scale_kernelILj256E21rocsparse_complex_numIdEEEvlPKT0_PS3_NS_24const_host_device_scalarIS3_EEb,"axG",@progbits,_ZN9rocsparseL21copy_and_scale_kernelILj256E21rocsparse_complex_numIdEEEvlPKT0_PS3_NS_24const_host_device_scalarIS3_EEb,comdat
	.globl	_ZN9rocsparseL21copy_and_scale_kernelILj256E21rocsparse_complex_numIdEEEvlPKT0_PS3_NS_24const_host_device_scalarIS3_EEb ; -- Begin function _ZN9rocsparseL21copy_and_scale_kernelILj256E21rocsparse_complex_numIdEEEvlPKT0_PS3_NS_24const_host_device_scalarIS3_EEb
	.p2align	8
	.type	_ZN9rocsparseL21copy_and_scale_kernelILj256E21rocsparse_complex_numIdEEEvlPKT0_PS3_NS_24const_host_device_scalarIS3_EEb,@function
_ZN9rocsparseL21copy_and_scale_kernelILj256E21rocsparse_complex_numIdEEEvlPKT0_PS3_NS_24const_host_device_scalarIS3_EEb: ; @_ZN9rocsparseL21copy_and_scale_kernelILj256E21rocsparse_complex_numIdEEEvlPKT0_PS3_NS_24const_host_device_scalarIS3_EEb
; %bb.0:
	s_load_dword s3, s[0:1], 0x28
	s_load_dwordx8 s[4:11], s[0:1], 0x0
	s_mov_b64 s[12:13], src_private_base
	s_load_dwordx2 s[0:1], s[0:1], 0x20
	s_waitcnt lgkmcnt(0)
	s_bitcmp1_b32 s3, 0
	s_cselect_b64 s[14:15], -1, 0
	s_and_b64 vcc, s[14:15], exec
	v_mov_b64_e32 v[2:3], s[10:11]
	s_cselect_b32 s3, s13, s11
	s_cselect_b32 s12, 0, s10
	scratch_store_dwordx2 off, v[2:3], off
	v_mov_b32_e32 v2, s12
	v_mov_b32_e32 v3, s3
	flat_load_dwordx2 v[4:5], v[2:3]
	v_mov_b64_e32 v[8:9], s[0:1]
	s_cbranch_vccnz .LBB81_2
; %bb.1:
	v_mov_b64_e32 v[2:3], s[10:11]
	flat_load_dwordx2 v[8:9], v[2:3] offset:8
.LBB81_2:
	v_lshl_or_b32 v6, s2, 8, v0
	v_mov_b32_e32 v7, 0
	v_cmp_gt_i64_e32 vcc, s[4:5], v[6:7]
	s_and_saveexec_b64 s[0:1], vcc
	s_cbranch_execz .LBB81_6
; %bb.3:
	s_waitcnt vmcnt(0) lgkmcnt(0)
	v_cmp_neq_f64_e32 vcc, 0, v[4:5]
	v_cmp_neq_f64_e64 s[0:1], 0, v[8:9]
	v_mov_b64_e32 v[0:1], 0
	s_or_b64 s[2:3], vcc, s[0:1]
	v_mov_b64_e32 v[2:3], 0
	s_and_saveexec_b64 s[0:1], s[2:3]
	s_cbranch_execz .LBB81_5
; %bb.4:
	v_mov_b32_e32 v0, s6
	v_mov_b32_e32 v1, s7
	v_lshl_add_u64 v[0:1], v[6:7], 4, v[0:1]
	global_load_dwordx4 v[10:13], v[0:1], off
	s_waitcnt vmcnt(0)
	v_mul_f64 v[0:1], v[8:9], -v[12:13]
	v_mul_f64 v[2:3], v[8:9], v[10:11]
	v_fmac_f64_e32 v[0:1], v[10:11], v[4:5]
	v_fmac_f64_e32 v[2:3], v[12:13], v[4:5]
.LBB81_5:
	s_or_b64 exec, exec, s[0:1]
	v_mov_b32_e32 v4, s8
	v_mov_b32_e32 v5, s9
	v_lshl_add_u64 v[4:5], v[6:7], 4, v[4:5]
	global_store_dwordx4 v[4:5], v[0:3], off
.LBB81_6:
	s_endpgm
	.section	.rodata,"a",@progbits
	.p2align	6, 0x0
	.amdhsa_kernel _ZN9rocsparseL21copy_and_scale_kernelILj256E21rocsparse_complex_numIdEEEvlPKT0_PS3_NS_24const_host_device_scalarIS3_EEb
		.amdhsa_group_segment_fixed_size 0
		.amdhsa_private_segment_fixed_size 16
		.amdhsa_kernarg_size 44
		.amdhsa_user_sgpr_count 2
		.amdhsa_user_sgpr_dispatch_ptr 0
		.amdhsa_user_sgpr_queue_ptr 0
		.amdhsa_user_sgpr_kernarg_segment_ptr 1
		.amdhsa_user_sgpr_dispatch_id 0
		.amdhsa_user_sgpr_kernarg_preload_length 0
		.amdhsa_user_sgpr_kernarg_preload_offset 0
		.amdhsa_user_sgpr_private_segment_size 0
		.amdhsa_uses_dynamic_stack 0
		.amdhsa_enable_private_segment 1
		.amdhsa_system_sgpr_workgroup_id_x 1
		.amdhsa_system_sgpr_workgroup_id_y 0
		.amdhsa_system_sgpr_workgroup_id_z 0
		.amdhsa_system_sgpr_workgroup_info 0
		.amdhsa_system_vgpr_workitem_id 0
		.amdhsa_next_free_vgpr 14
		.amdhsa_next_free_sgpr 16
		.amdhsa_accum_offset 16
		.amdhsa_reserve_vcc 1
		.amdhsa_float_round_mode_32 0
		.amdhsa_float_round_mode_16_64 0
		.amdhsa_float_denorm_mode_32 3
		.amdhsa_float_denorm_mode_16_64 3
		.amdhsa_dx10_clamp 1
		.amdhsa_ieee_mode 1
		.amdhsa_fp16_overflow 0
		.amdhsa_tg_split 0
		.amdhsa_exception_fp_ieee_invalid_op 0
		.amdhsa_exception_fp_denorm_src 0
		.amdhsa_exception_fp_ieee_div_zero 0
		.amdhsa_exception_fp_ieee_overflow 0
		.amdhsa_exception_fp_ieee_underflow 0
		.amdhsa_exception_fp_ieee_inexact 0
		.amdhsa_exception_int_div_zero 0
	.end_amdhsa_kernel
	.section	.text._ZN9rocsparseL21copy_and_scale_kernelILj256E21rocsparse_complex_numIdEEEvlPKT0_PS3_NS_24const_host_device_scalarIS3_EEb,"axG",@progbits,_ZN9rocsparseL21copy_and_scale_kernelILj256E21rocsparse_complex_numIdEEEvlPKT0_PS3_NS_24const_host_device_scalarIS3_EEb,comdat
.Lfunc_end81:
	.size	_ZN9rocsparseL21copy_and_scale_kernelILj256E21rocsparse_complex_numIdEEEvlPKT0_PS3_NS_24const_host_device_scalarIS3_EEb, .Lfunc_end81-_ZN9rocsparseL21copy_and_scale_kernelILj256E21rocsparse_complex_numIdEEEvlPKT0_PS3_NS_24const_host_device_scalarIS3_EEb
                                        ; -- End function
	.set _ZN9rocsparseL21copy_and_scale_kernelILj256E21rocsparse_complex_numIdEEEvlPKT0_PS3_NS_24const_host_device_scalarIS3_EEb.num_vgpr, 14
	.set _ZN9rocsparseL21copy_and_scale_kernelILj256E21rocsparse_complex_numIdEEEvlPKT0_PS3_NS_24const_host_device_scalarIS3_EEb.num_agpr, 0
	.set _ZN9rocsparseL21copy_and_scale_kernelILj256E21rocsparse_complex_numIdEEEvlPKT0_PS3_NS_24const_host_device_scalarIS3_EEb.numbered_sgpr, 16
	.set _ZN9rocsparseL21copy_and_scale_kernelILj256E21rocsparse_complex_numIdEEEvlPKT0_PS3_NS_24const_host_device_scalarIS3_EEb.num_named_barrier, 0
	.set _ZN9rocsparseL21copy_and_scale_kernelILj256E21rocsparse_complex_numIdEEEvlPKT0_PS3_NS_24const_host_device_scalarIS3_EEb.private_seg_size, 16
	.set _ZN9rocsparseL21copy_and_scale_kernelILj256E21rocsparse_complex_numIdEEEvlPKT0_PS3_NS_24const_host_device_scalarIS3_EEb.uses_vcc, 1
	.set _ZN9rocsparseL21copy_and_scale_kernelILj256E21rocsparse_complex_numIdEEEvlPKT0_PS3_NS_24const_host_device_scalarIS3_EEb.uses_flat_scratch, 0
	.set _ZN9rocsparseL21copy_and_scale_kernelILj256E21rocsparse_complex_numIdEEEvlPKT0_PS3_NS_24const_host_device_scalarIS3_EEb.has_dyn_sized_stack, 0
	.set _ZN9rocsparseL21copy_and_scale_kernelILj256E21rocsparse_complex_numIdEEEvlPKT0_PS3_NS_24const_host_device_scalarIS3_EEb.has_recursion, 0
	.set _ZN9rocsparseL21copy_and_scale_kernelILj256E21rocsparse_complex_numIdEEEvlPKT0_PS3_NS_24const_host_device_scalarIS3_EEb.has_indirect_call, 0
	.section	.AMDGPU.csdata,"",@progbits
; Kernel info:
; codeLenInByte = 244
; TotalNumSgprs: 22
; NumVgprs: 14
; NumAgprs: 0
; TotalNumVgprs: 14
; ScratchSize: 16
; MemoryBound: 0
; FloatMode: 240
; IeeeMode: 1
; LDSByteSize: 0 bytes/workgroup (compile time only)
; SGPRBlocks: 2
; VGPRBlocks: 1
; NumSGPRsForWavesPerEU: 22
; NumVGPRsForWavesPerEU: 14
; AccumOffset: 16
; Occupancy: 8
; WaveLimiterHint : 0
; COMPUTE_PGM_RSRC2:SCRATCH_EN: 1
; COMPUTE_PGM_RSRC2:USER_SGPR: 2
; COMPUTE_PGM_RSRC2:TRAP_HANDLER: 0
; COMPUTE_PGM_RSRC2:TGID_X_EN: 1
; COMPUTE_PGM_RSRC2:TGID_Y_EN: 0
; COMPUTE_PGM_RSRC2:TGID_Z_EN: 0
; COMPUTE_PGM_RSRC2:TIDIG_COMP_CNT: 0
; COMPUTE_PGM_RSRC3_GFX90A:ACCUM_OFFSET: 3
; COMPUTE_PGM_RSRC3_GFX90A:TG_SPLIT: 0
	.section	.AMDGPU.gpr_maximums,"",@progbits
	.set amdgpu.max_num_vgpr, 0
	.set amdgpu.max_num_agpr, 0
	.set amdgpu.max_num_sgpr, 0
	.section	.AMDGPU.csdata,"",@progbits
	.type	__hip_cuid_455ace7603eac301,@object ; @__hip_cuid_455ace7603eac301
	.section	.bss,"aw",@nobits
	.globl	__hip_cuid_455ace7603eac301
__hip_cuid_455ace7603eac301:
	.byte	0                               ; 0x0
	.size	__hip_cuid_455ace7603eac301, 1

	.ident	"AMD clang version 22.0.0git (https://github.com/RadeonOpenCompute/llvm-project roc-7.2.4 26084 f58b06dce1f9c15707c5f808fd002e18c2accf7e)"
	.section	".note.GNU-stack","",@progbits
	.addrsig
	.addrsig_sym __hip_cuid_455ace7603eac301
	.amdgpu_metadata
---
amdhsa.kernels:
  - .agpr_count:     0
    .args:
      - .offset:         0
        .size:           4
        .value_kind:     by_value
      - .offset:         4
        .size:           4
        .value_kind:     by_value
      - .offset:         8
        .size:           4
        .value_kind:     by_value
      - .address_space:  global
        .offset:         16
        .size:           8
        .value_kind:     global_buffer
      - .offset:         24
        .size:           8
        .value_kind:     by_value
      - .address_space:  global
        .offset:         32
        .size:           8
        .value_kind:     global_buffer
      - .offset:         40
        .size:           8
        .value_kind:     by_value
    .group_segment_fixed_size: 4096
    .kernarg_segment_align: 8
    .kernarg_segment_size: 48
    .language:       OpenCL C
    .language_version:
      - 2
      - 0
    .max_flat_workgroup_size: 256
    .name:           _ZN9rocsparseL22dense_transpose_kernelILj32ELj8EiffEEvT1_S1_T3_PKT2_lPS3_l
    .private_segment_fixed_size: 0
    .sgpr_count:     28
    .sgpr_spill_count: 0
    .symbol:         _ZN9rocsparseL22dense_transpose_kernelILj32ELj8EiffEEvT1_S1_T3_PKT2_lPS3_l.kd
    .uniform_work_group_size: 1
    .uses_dynamic_stack: false
    .vgpr_count:     20
    .vgpr_spill_count: 0
    .wavefront_size: 64
  - .agpr_count:     0
    .args:
      - .offset:         0
        .size:           4
        .value_kind:     by_value
      - .offset:         4
        .size:           4
        .value_kind:     by_value
      - .address_space:  global
        .offset:         8
        .size:           8
        .value_kind:     global_buffer
      - .address_space:  global
        .offset:         16
        .size:           8
        .value_kind:     global_buffer
      - .offset:         24
        .size:           8
        .value_kind:     by_value
      - .address_space:  global
        .offset:         32
        .size:           8
        .value_kind:     global_buffer
      - .offset:         40
        .size:           8
        .value_kind:     by_value
    .group_segment_fixed_size: 4096
    .kernarg_segment_align: 8
    .kernarg_segment_size: 48
    .language:       OpenCL C
    .language_version:
      - 2
      - 0
    .max_flat_workgroup_size: 256
    .name:           _ZN9rocsparseL22dense_transpose_kernelILj32ELj8EifPKfEEvT1_S3_T3_PKT2_lPS5_l
    .private_segment_fixed_size: 0
    .sgpr_count:     27
    .sgpr_spill_count: 0
    .symbol:         _ZN9rocsparseL22dense_transpose_kernelILj32ELj8EifPKfEEvT1_S3_T3_PKT2_lPS5_l.kd
    .uniform_work_group_size: 1
    .uses_dynamic_stack: false
    .vgpr_count:     20
    .vgpr_spill_count: 0
    .wavefront_size: 64
  - .agpr_count:     0
    .args:
      - .offset:         0
        .size:           4
        .value_kind:     by_value
      - .offset:         4
        .size:           4
        .value_kind:     by_value
      - .offset:         8
        .size:           8
        .value_kind:     by_value
      - .address_space:  global
        .offset:         16
        .size:           8
        .value_kind:     global_buffer
      - .offset:         24
        .size:           8
        .value_kind:     by_value
      - .address_space:  global
        .offset:         32
        .size:           8
        .value_kind:     global_buffer
      - .offset:         40
        .size:           8
        .value_kind:     by_value
    .group_segment_fixed_size: 8192
    .kernarg_segment_align: 8
    .kernarg_segment_size: 48
    .language:       OpenCL C
    .language_version:
      - 2
      - 0
    .max_flat_workgroup_size: 256
    .name:           _ZN9rocsparseL22dense_transpose_kernelILj32ELj8EiddEEvT1_S1_T3_PKT2_lPS3_l
    .private_segment_fixed_size: 0
    .sgpr_count:     28
    .sgpr_spill_count: 0
    .symbol:         _ZN9rocsparseL22dense_transpose_kernelILj32ELj8EiddEEvT1_S1_T3_PKT2_lPS3_l.kd
    .uniform_work_group_size: 1
    .uses_dynamic_stack: false
    .vgpr_count:     20
    .vgpr_spill_count: 0
    .wavefront_size: 64
  - .agpr_count:     0
    .args:
      - .offset:         0
        .size:           4
        .value_kind:     by_value
      - .offset:         4
        .size:           4
        .value_kind:     by_value
      - .address_space:  global
        .offset:         8
        .size:           8
        .value_kind:     global_buffer
      - .address_space:  global
        .offset:         16
        .size:           8
        .value_kind:     global_buffer
      - .offset:         24
        .size:           8
        .value_kind:     by_value
      - .address_space:  global
        .offset:         32
        .size:           8
        .value_kind:     global_buffer
      - .offset:         40
        .size:           8
        .value_kind:     by_value
    .group_segment_fixed_size: 8192
    .kernarg_segment_align: 8
    .kernarg_segment_size: 48
    .language:       OpenCL C
    .language_version:
      - 2
      - 0
    .max_flat_workgroup_size: 256
    .name:           _ZN9rocsparseL22dense_transpose_kernelILj32ELj8EidPKdEEvT1_S3_T3_PKT2_lPS5_l
    .private_segment_fixed_size: 0
    .sgpr_count:     28
    .sgpr_spill_count: 0
    .symbol:         _ZN9rocsparseL22dense_transpose_kernelILj32ELj8EidPKdEEvT1_S3_T3_PKT2_lPS5_l.kd
    .uniform_work_group_size: 1
    .uses_dynamic_stack: false
    .vgpr_count:     20
    .vgpr_spill_count: 0
    .wavefront_size: 64
  - .agpr_count:     0
    .args:
      - .offset:         0
        .size:           4
        .value_kind:     by_value
      - .offset:         4
        .size:           4
        .value_kind:     by_value
      - .offset:         8
        .size:           8
        .value_kind:     by_value
      - .address_space:  global
        .offset:         16
        .size:           8
        .value_kind:     global_buffer
      - .offset:         24
        .size:           8
        .value_kind:     by_value
      - .address_space:  global
        .offset:         32
        .size:           8
        .value_kind:     global_buffer
      - .offset:         40
        .size:           8
        .value_kind:     by_value
    .group_segment_fixed_size: 8192
    .kernarg_segment_align: 8
    .kernarg_segment_size: 48
    .language:       OpenCL C
    .language_version:
      - 2
      - 0
    .max_flat_workgroup_size: 256
    .name:           _ZN9rocsparseL22dense_transpose_kernelILj32ELj8Ei21rocsparse_complex_numIfES2_EEvT1_S3_T3_PKT2_lPS5_l
    .private_segment_fixed_size: 0
    .sgpr_count:     30
    .sgpr_spill_count: 0
    .symbol:         _ZN9rocsparseL22dense_transpose_kernelILj32ELj8Ei21rocsparse_complex_numIfES2_EEvT1_S3_T3_PKT2_lPS5_l.kd
    .uniform_work_group_size: 1
    .uses_dynamic_stack: false
    .vgpr_count:     22
    .vgpr_spill_count: 0
    .wavefront_size: 64
  - .agpr_count:     0
    .args:
      - .offset:         0
        .size:           4
        .value_kind:     by_value
      - .offset:         4
        .size:           4
        .value_kind:     by_value
      - .address_space:  global
        .offset:         8
        .size:           8
        .value_kind:     global_buffer
      - .address_space:  global
        .offset:         16
        .size:           8
        .value_kind:     global_buffer
      - .offset:         24
        .size:           8
        .value_kind:     by_value
      - .address_space:  global
        .offset:         32
        .size:           8
        .value_kind:     global_buffer
      - .offset:         40
        .size:           8
        .value_kind:     by_value
    .group_segment_fixed_size: 8192
    .kernarg_segment_align: 8
    .kernarg_segment_size: 48
    .language:       OpenCL C
    .language_version:
      - 2
      - 0
    .max_flat_workgroup_size: 256
    .name:           _ZN9rocsparseL22dense_transpose_kernelILj32ELj8Ei21rocsparse_complex_numIfEPKS2_EEvT1_S5_T3_PKT2_lPS7_l
    .private_segment_fixed_size: 0
    .sgpr_count:     30
    .sgpr_spill_count: 0
    .symbol:         _ZN9rocsparseL22dense_transpose_kernelILj32ELj8Ei21rocsparse_complex_numIfEPKS2_EEvT1_S5_T3_PKT2_lPS7_l.kd
    .uniform_work_group_size: 1
    .uses_dynamic_stack: false
    .vgpr_count:     22
    .vgpr_spill_count: 0
    .wavefront_size: 64
  - .agpr_count:     0
    .args:
      - .offset:         0
        .size:           4
        .value_kind:     by_value
      - .offset:         4
        .size:           4
        .value_kind:     by_value
      - .offset:         8
        .size:           16
        .value_kind:     by_value
      - .address_space:  global
        .offset:         24
        .size:           8
        .value_kind:     global_buffer
      - .offset:         32
        .size:           8
        .value_kind:     by_value
      - .address_space:  global
        .offset:         40
        .size:           8
        .value_kind:     global_buffer
      - .offset:         48
        .size:           8
        .value_kind:     by_value
    .group_segment_fixed_size: 16384
    .kernarg_segment_align: 8
    .kernarg_segment_size: 56
    .language:       OpenCL C
    .language_version:
      - 2
      - 0
    .max_flat_workgroup_size: 256
    .name:           _ZN9rocsparseL22dense_transpose_kernelILj32ELj8Ei21rocsparse_complex_numIdES2_EEvT1_S3_T3_PKT2_lPS5_l
    .private_segment_fixed_size: 0
    .sgpr_count:     30
    .sgpr_spill_count: 0
    .symbol:         _ZN9rocsparseL22dense_transpose_kernelILj32ELj8Ei21rocsparse_complex_numIdES2_EEvT1_S3_T3_PKT2_lPS5_l.kd
    .uniform_work_group_size: 1
    .uses_dynamic_stack: false
    .vgpr_count:     28
    .vgpr_spill_count: 0
    .wavefront_size: 64
  - .agpr_count:     0
    .args:
      - .offset:         0
        .size:           4
        .value_kind:     by_value
      - .offset:         4
        .size:           4
        .value_kind:     by_value
      - .address_space:  global
        .offset:         8
        .size:           8
        .value_kind:     global_buffer
      - .address_space:  global
        .offset:         16
        .size:           8
        .value_kind:     global_buffer
      - .offset:         24
        .size:           8
        .value_kind:     by_value
      - .address_space:  global
        .offset:         32
        .size:           8
        .value_kind:     global_buffer
      - .offset:         40
        .size:           8
        .value_kind:     by_value
    .group_segment_fixed_size: 16384
    .kernarg_segment_align: 8
    .kernarg_segment_size: 48
    .language:       OpenCL C
    .language_version:
      - 2
      - 0
    .max_flat_workgroup_size: 256
    .name:           _ZN9rocsparseL22dense_transpose_kernelILj32ELj8Ei21rocsparse_complex_numIdEPKS2_EEvT1_S5_T3_PKT2_lPS7_l
    .private_segment_fixed_size: 0
    .sgpr_count:     30
    .sgpr_spill_count: 0
    .symbol:         _ZN9rocsparseL22dense_transpose_kernelILj32ELj8Ei21rocsparse_complex_numIdEPKS2_EEvT1_S5_T3_PKT2_lPS7_l.kd
    .uniform_work_group_size: 1
    .uses_dynamic_stack: false
    .vgpr_count:     28
    .vgpr_spill_count: 0
    .wavefront_size: 64
  - .agpr_count:     0
    .args:
      - .offset:         0
        .size:           8
        .value_kind:     by_value
      - .offset:         8
        .size:           8
        .value_kind:     by_value
      - .offset:         16
        .size:           4
        .value_kind:     by_value
      - .address_space:  global
        .offset:         24
        .size:           8
        .value_kind:     global_buffer
      - .offset:         32
        .size:           8
        .value_kind:     by_value
      - .address_space:  global
        .offset:         40
        .size:           8
        .value_kind:     global_buffer
      - .offset:         48
        .size:           8
        .value_kind:     by_value
    .group_segment_fixed_size: 4096
    .kernarg_segment_align: 8
    .kernarg_segment_size: 56
    .language:       OpenCL C
    .language_version:
      - 2
      - 0
    .max_flat_workgroup_size: 256
    .name:           _ZN9rocsparseL22dense_transpose_kernelILj32ELj8ElffEEvT1_S1_T3_PKT2_lPS3_l
    .private_segment_fixed_size: 0
    .sgpr_count:     29
    .sgpr_spill_count: 0
    .symbol:         _ZN9rocsparseL22dense_transpose_kernelILj32ELj8ElffEEvT1_S1_T3_PKT2_lPS3_l.kd
    .uniform_work_group_size: 1
    .uses_dynamic_stack: false
    .vgpr_count:     30
    .vgpr_spill_count: 0
    .wavefront_size: 64
  - .agpr_count:     0
    .args:
      - .offset:         0
        .size:           8
        .value_kind:     by_value
      - .offset:         8
        .size:           8
        .value_kind:     by_value
      - .address_space:  global
        .offset:         16
        .size:           8
        .value_kind:     global_buffer
      - .address_space:  global
        .offset:         24
        .size:           8
        .value_kind:     global_buffer
      - .offset:         32
        .size:           8
        .value_kind:     by_value
      - .address_space:  global
        .offset:         40
        .size:           8
        .value_kind:     global_buffer
      - .offset:         48
        .size:           8
        .value_kind:     by_value
    .group_segment_fixed_size: 4096
    .kernarg_segment_align: 8
    .kernarg_segment_size: 56
    .language:       OpenCL C
    .language_version:
      - 2
      - 0
    .max_flat_workgroup_size: 256
    .name:           _ZN9rocsparseL22dense_transpose_kernelILj32ELj8ElfPKfEEvT1_S3_T3_PKT2_lPS5_l
    .private_segment_fixed_size: 0
    .sgpr_count:     30
    .sgpr_spill_count: 0
    .symbol:         _ZN9rocsparseL22dense_transpose_kernelILj32ELj8ElfPKfEEvT1_S3_T3_PKT2_lPS5_l.kd
    .uniform_work_group_size: 1
    .uses_dynamic_stack: false
    .vgpr_count:     30
    .vgpr_spill_count: 0
    .wavefront_size: 64
  - .agpr_count:     0
    .args:
      - .offset:         0
        .size:           8
        .value_kind:     by_value
      - .offset:         8
        .size:           8
        .value_kind:     by_value
      - .offset:         16
        .size:           8
        .value_kind:     by_value
      - .address_space:  global
        .offset:         24
        .size:           8
        .value_kind:     global_buffer
      - .offset:         32
        .size:           8
        .value_kind:     by_value
      - .address_space:  global
        .offset:         40
        .size:           8
        .value_kind:     global_buffer
      - .offset:         48
        .size:           8
        .value_kind:     by_value
    .group_segment_fixed_size: 8192
    .kernarg_segment_align: 8
    .kernarg_segment_size: 56
    .language:       OpenCL C
    .language_version:
      - 2
      - 0
    .max_flat_workgroup_size: 256
    .name:           _ZN9rocsparseL22dense_transpose_kernelILj32ELj8ElddEEvT1_S1_T3_PKT2_lPS3_l
    .private_segment_fixed_size: 0
    .sgpr_count:     30
    .sgpr_spill_count: 0
    .symbol:         _ZN9rocsparseL22dense_transpose_kernelILj32ELj8ElddEEvT1_S1_T3_PKT2_lPS3_l.kd
    .uniform_work_group_size: 1
    .uses_dynamic_stack: false
    .vgpr_count:     32
    .vgpr_spill_count: 0
    .wavefront_size: 64
  - .agpr_count:     0
    .args:
      - .offset:         0
        .size:           8
        .value_kind:     by_value
      - .offset:         8
        .size:           8
        .value_kind:     by_value
      - .address_space:  global
        .offset:         16
        .size:           8
        .value_kind:     global_buffer
      - .address_space:  global
        .offset:         24
        .size:           8
        .value_kind:     global_buffer
      - .offset:         32
        .size:           8
        .value_kind:     by_value
      - .address_space:  global
        .offset:         40
        .size:           8
        .value_kind:     global_buffer
      - .offset:         48
        .size:           8
        .value_kind:     by_value
    .group_segment_fixed_size: 8192
    .kernarg_segment_align: 8
    .kernarg_segment_size: 56
    .language:       OpenCL C
    .language_version:
      - 2
      - 0
    .max_flat_workgroup_size: 256
    .name:           _ZN9rocsparseL22dense_transpose_kernelILj32ELj8EldPKdEEvT1_S3_T3_PKT2_lPS5_l
    .private_segment_fixed_size: 0
    .sgpr_count:     30
    .sgpr_spill_count: 0
    .symbol:         _ZN9rocsparseL22dense_transpose_kernelILj32ELj8EldPKdEEvT1_S3_T3_PKT2_lPS5_l.kd
    .uniform_work_group_size: 1
    .uses_dynamic_stack: false
    .vgpr_count:     32
    .vgpr_spill_count: 0
    .wavefront_size: 64
  - .agpr_count:     0
    .args:
      - .offset:         0
        .size:           8
        .value_kind:     by_value
      - .offset:         8
        .size:           8
        .value_kind:     by_value
      - .offset:         16
        .size:           8
        .value_kind:     by_value
      - .address_space:  global
        .offset:         24
        .size:           8
        .value_kind:     global_buffer
      - .offset:         32
        .size:           8
        .value_kind:     by_value
      - .address_space:  global
        .offset:         40
        .size:           8
        .value_kind:     global_buffer
      - .offset:         48
        .size:           8
        .value_kind:     by_value
    .group_segment_fixed_size: 8192
    .kernarg_segment_align: 8
    .kernarg_segment_size: 56
    .language:       OpenCL C
    .language_version:
      - 2
      - 0
    .max_flat_workgroup_size: 256
    .name:           _ZN9rocsparseL22dense_transpose_kernelILj32ELj8El21rocsparse_complex_numIfES2_EEvT1_S3_T3_PKT2_lPS5_l
    .private_segment_fixed_size: 0
    .sgpr_count:     32
    .sgpr_spill_count: 0
    .symbol:         _ZN9rocsparseL22dense_transpose_kernelILj32ELj8El21rocsparse_complex_numIfES2_EEvT1_S3_T3_PKT2_lPS5_l.kd
    .uniform_work_group_size: 1
    .uses_dynamic_stack: false
    .vgpr_count:     34
    .vgpr_spill_count: 0
    .wavefront_size: 64
  - .agpr_count:     0
    .args:
      - .offset:         0
        .size:           8
        .value_kind:     by_value
      - .offset:         8
        .size:           8
        .value_kind:     by_value
      - .address_space:  global
        .offset:         16
        .size:           8
        .value_kind:     global_buffer
      - .address_space:  global
        .offset:         24
        .size:           8
        .value_kind:     global_buffer
      - .offset:         32
        .size:           8
        .value_kind:     by_value
      - .address_space:  global
        .offset:         40
        .size:           8
        .value_kind:     global_buffer
      - .offset:         48
        .size:           8
        .value_kind:     by_value
    .group_segment_fixed_size: 8192
    .kernarg_segment_align: 8
    .kernarg_segment_size: 56
    .language:       OpenCL C
    .language_version:
      - 2
      - 0
    .max_flat_workgroup_size: 256
    .name:           _ZN9rocsparseL22dense_transpose_kernelILj32ELj8El21rocsparse_complex_numIfEPKS2_EEvT1_S5_T3_PKT2_lPS7_l
    .private_segment_fixed_size: 0
    .sgpr_count:     32
    .sgpr_spill_count: 0
    .symbol:         _ZN9rocsparseL22dense_transpose_kernelILj32ELj8El21rocsparse_complex_numIfEPKS2_EEvT1_S5_T3_PKT2_lPS7_l.kd
    .uniform_work_group_size: 1
    .uses_dynamic_stack: false
    .vgpr_count:     34
    .vgpr_spill_count: 0
    .wavefront_size: 64
  - .agpr_count:     0
    .args:
      - .offset:         0
        .size:           8
        .value_kind:     by_value
      - .offset:         8
        .size:           8
        .value_kind:     by_value
      - .offset:         16
        .size:           16
        .value_kind:     by_value
      - .address_space:  global
        .offset:         32
        .size:           8
        .value_kind:     global_buffer
      - .offset:         40
        .size:           8
        .value_kind:     by_value
      - .address_space:  global
        .offset:         48
        .size:           8
        .value_kind:     global_buffer
      - .offset:         56
        .size:           8
        .value_kind:     by_value
    .group_segment_fixed_size: 16384
    .kernarg_segment_align: 8
    .kernarg_segment_size: 64
    .language:       OpenCL C
    .language_version:
      - 2
      - 0
    .max_flat_workgroup_size: 256
    .name:           _ZN9rocsparseL22dense_transpose_kernelILj32ELj8El21rocsparse_complex_numIdES2_EEvT1_S3_T3_PKT2_lPS5_l
    .private_segment_fixed_size: 0
    .sgpr_count:     32
    .sgpr_spill_count: 0
    .symbol:         _ZN9rocsparseL22dense_transpose_kernelILj32ELj8El21rocsparse_complex_numIdES2_EEvT1_S3_T3_PKT2_lPS5_l.kd
    .uniform_work_group_size: 1
    .uses_dynamic_stack: false
    .vgpr_count:     42
    .vgpr_spill_count: 0
    .wavefront_size: 64
  - .agpr_count:     0
    .args:
      - .offset:         0
        .size:           8
        .value_kind:     by_value
      - .offset:         8
        .size:           8
        .value_kind:     by_value
      - .address_space:  global
        .offset:         16
        .size:           8
        .value_kind:     global_buffer
      - .address_space:  global
        .offset:         24
        .size:           8
        .value_kind:     global_buffer
      - .offset:         32
        .size:           8
        .value_kind:     by_value
      - .address_space:  global
        .offset:         40
        .size:           8
        .value_kind:     global_buffer
      - .offset:         48
        .size:           8
        .value_kind:     by_value
    .group_segment_fixed_size: 16384
    .kernarg_segment_align: 8
    .kernarg_segment_size: 56
    .language:       OpenCL C
    .language_version:
      - 2
      - 0
    .max_flat_workgroup_size: 256
    .name:           _ZN9rocsparseL22dense_transpose_kernelILj32ELj8El21rocsparse_complex_numIdEPKS2_EEvT1_S5_T3_PKT2_lPS7_l
    .private_segment_fixed_size: 0
    .sgpr_count:     34
    .sgpr_spill_count: 0
    .symbol:         _ZN9rocsparseL22dense_transpose_kernelILj32ELj8El21rocsparse_complex_numIdEPKS2_EEvT1_S5_T3_PKT2_lPS7_l.kd
    .uniform_work_group_size: 1
    .uses_dynamic_stack: false
    .vgpr_count:     42
    .vgpr_spill_count: 0
    .wavefront_size: 64
  - .agpr_count:     0
    .args:
      - .offset:         0
        .size:           4
        .value_kind:     by_value
      - .offset:         4
        .size:           4
        .value_kind:     by_value
      - .address_space:  global
        .offset:         8
        .size:           8
        .value_kind:     global_buffer
      - .offset:         16
        .size:           8
        .value_kind:     by_value
      - .address_space:  global
        .offset:         24
        .size:           8
        .value_kind:     global_buffer
      - .offset:         32
        .size:           8
        .value_kind:     by_value
    .group_segment_fixed_size: 4096
    .kernarg_segment_align: 8
    .kernarg_segment_size: 40
    .language:       OpenCL C
    .language_version:
      - 2
      - 0
    .max_flat_workgroup_size: 256
    .name:           _ZN9rocsparseL27dense_transpose_back_kernelILj32ELj8EifEEvT1_S1_PKT2_lPS2_l
    .private_segment_fixed_size: 0
    .sgpr_count:     26
    .sgpr_spill_count: 0
    .symbol:         _ZN9rocsparseL27dense_transpose_back_kernelILj32ELj8EifEEvT1_S1_PKT2_lPS2_l.kd
    .uniform_work_group_size: 1
    .uses_dynamic_stack: false
    .vgpr_count:     21
    .vgpr_spill_count: 0
    .wavefront_size: 64
  - .agpr_count:     0
    .args:
      - .offset:         0
        .size:           4
        .value_kind:     by_value
      - .offset:         4
        .size:           4
        .value_kind:     by_value
      - .address_space:  global
        .offset:         8
        .size:           8
        .value_kind:     global_buffer
      - .offset:         16
        .size:           8
        .value_kind:     by_value
      - .address_space:  global
        .offset:         24
        .size:           8
        .value_kind:     global_buffer
      - .offset:         32
        .size:           8
        .value_kind:     by_value
    .group_segment_fixed_size: 8192
    .kernarg_segment_align: 8
    .kernarg_segment_size: 40
    .language:       OpenCL C
    .language_version:
      - 2
      - 0
    .max_flat_workgroup_size: 256
    .name:           _ZN9rocsparseL27dense_transpose_back_kernelILj32ELj8EidEEvT1_S1_PKT2_lPS2_l
    .private_segment_fixed_size: 0
    .sgpr_count:     26
    .sgpr_spill_count: 0
    .symbol:         _ZN9rocsparseL27dense_transpose_back_kernelILj32ELj8EidEEvT1_S1_PKT2_lPS2_l.kd
    .uniform_work_group_size: 1
    .uses_dynamic_stack: false
    .vgpr_count:     22
    .vgpr_spill_count: 0
    .wavefront_size: 64
  - .agpr_count:     0
    .args:
      - .offset:         0
        .size:           4
        .value_kind:     by_value
      - .offset:         4
        .size:           4
        .value_kind:     by_value
      - .address_space:  global
        .offset:         8
        .size:           8
        .value_kind:     global_buffer
      - .offset:         16
        .size:           8
        .value_kind:     by_value
      - .address_space:  global
        .offset:         24
        .size:           8
        .value_kind:     global_buffer
      - .offset:         32
        .size:           8
        .value_kind:     by_value
    .group_segment_fixed_size: 8192
    .kernarg_segment_align: 8
    .kernarg_segment_size: 40
    .language:       OpenCL C
    .language_version:
      - 2
      - 0
    .max_flat_workgroup_size: 256
    .name:           _ZN9rocsparseL27dense_transpose_back_kernelILj32ELj8Ei21rocsparse_complex_numIfEEEvT1_S3_PKT2_lPS4_l
    .private_segment_fixed_size: 0
    .sgpr_count:     26
    .sgpr_spill_count: 0
    .symbol:         _ZN9rocsparseL27dense_transpose_back_kernelILj32ELj8Ei21rocsparse_complex_numIfEEEvT1_S3_PKT2_lPS4_l.kd
    .uniform_work_group_size: 1
    .uses_dynamic_stack: false
    .vgpr_count:     22
    .vgpr_spill_count: 0
    .wavefront_size: 64
  - .agpr_count:     0
    .args:
      - .offset:         0
        .size:           4
        .value_kind:     by_value
      - .offset:         4
        .size:           4
        .value_kind:     by_value
      - .address_space:  global
        .offset:         8
        .size:           8
        .value_kind:     global_buffer
      - .offset:         16
        .size:           8
        .value_kind:     by_value
      - .address_space:  global
        .offset:         24
        .size:           8
        .value_kind:     global_buffer
      - .offset:         32
        .size:           8
        .value_kind:     by_value
    .group_segment_fixed_size: 16384
    .kernarg_segment_align: 8
    .kernarg_segment_size: 40
    .language:       OpenCL C
    .language_version:
      - 2
      - 0
    .max_flat_workgroup_size: 256
    .name:           _ZN9rocsparseL27dense_transpose_back_kernelILj32ELj8Ei21rocsparse_complex_numIdEEEvT1_S3_PKT2_lPS4_l
    .private_segment_fixed_size: 0
    .sgpr_count:     26
    .sgpr_spill_count: 0
    .symbol:         _ZN9rocsparseL27dense_transpose_back_kernelILj32ELj8Ei21rocsparse_complex_numIdEEEvT1_S3_PKT2_lPS4_l.kd
    .uniform_work_group_size: 1
    .uses_dynamic_stack: false
    .vgpr_count:     30
    .vgpr_spill_count: 0
    .wavefront_size: 64
  - .agpr_count:     0
    .args:
      - .offset:         0
        .size:           8
        .value_kind:     by_value
      - .offset:         8
        .size:           8
        .value_kind:     by_value
      - .address_space:  global
        .offset:         16
        .size:           8
        .value_kind:     global_buffer
      - .offset:         24
        .size:           8
        .value_kind:     by_value
      - .address_space:  global
        .offset:         32
        .size:           8
        .value_kind:     global_buffer
      - .offset:         40
        .size:           8
        .value_kind:     by_value
    .group_segment_fixed_size: 4096
    .kernarg_segment_align: 8
    .kernarg_segment_size: 48
    .language:       OpenCL C
    .language_version:
      - 2
      - 0
    .max_flat_workgroup_size: 256
    .name:           _ZN9rocsparseL27dense_transpose_back_kernelILj32ELj8ElfEEvT1_S1_PKT2_lPS2_l
    .private_segment_fixed_size: 0
    .sgpr_count:     30
    .sgpr_spill_count: 0
    .symbol:         _ZN9rocsparseL27dense_transpose_back_kernelILj32ELj8ElfEEvT1_S1_PKT2_lPS2_l.kd
    .uniform_work_group_size: 1
    .uses_dynamic_stack: false
    .vgpr_count:     30
    .vgpr_spill_count: 0
    .wavefront_size: 64
  - .agpr_count:     0
    .args:
      - .offset:         0
        .size:           8
        .value_kind:     by_value
      - .offset:         8
        .size:           8
        .value_kind:     by_value
      - .address_space:  global
        .offset:         16
        .size:           8
        .value_kind:     global_buffer
      - .offset:         24
        .size:           8
        .value_kind:     by_value
      - .address_space:  global
        .offset:         32
        .size:           8
        .value_kind:     global_buffer
      - .offset:         40
        .size:           8
        .value_kind:     by_value
    .group_segment_fixed_size: 8192
    .kernarg_segment_align: 8
    .kernarg_segment_size: 48
    .language:       OpenCL C
    .language_version:
      - 2
      - 0
    .max_flat_workgroup_size: 256
    .name:           _ZN9rocsparseL27dense_transpose_back_kernelILj32ELj8EldEEvT1_S1_PKT2_lPS2_l
    .private_segment_fixed_size: 0
    .sgpr_count:     30
    .sgpr_spill_count: 0
    .symbol:         _ZN9rocsparseL27dense_transpose_back_kernelILj32ELj8EldEEvT1_S1_PKT2_lPS2_l.kd
    .uniform_work_group_size: 1
    .uses_dynamic_stack: false
    .vgpr_count:     32
    .vgpr_spill_count: 0
    .wavefront_size: 64
  - .agpr_count:     0
    .args:
      - .offset:         0
        .size:           8
        .value_kind:     by_value
      - .offset:         8
        .size:           8
        .value_kind:     by_value
      - .address_space:  global
        .offset:         16
        .size:           8
        .value_kind:     global_buffer
      - .offset:         24
        .size:           8
        .value_kind:     by_value
      - .address_space:  global
        .offset:         32
        .size:           8
        .value_kind:     global_buffer
      - .offset:         40
        .size:           8
        .value_kind:     by_value
    .group_segment_fixed_size: 8192
    .kernarg_segment_align: 8
    .kernarg_segment_size: 48
    .language:       OpenCL C
    .language_version:
      - 2
      - 0
    .max_flat_workgroup_size: 256
    .name:           _ZN9rocsparseL27dense_transpose_back_kernelILj32ELj8El21rocsparse_complex_numIfEEEvT1_S3_PKT2_lPS4_l
    .private_segment_fixed_size: 0
    .sgpr_count:     30
    .sgpr_spill_count: 0
    .symbol:         _ZN9rocsparseL27dense_transpose_back_kernelILj32ELj8El21rocsparse_complex_numIfEEEvT1_S3_PKT2_lPS4_l.kd
    .uniform_work_group_size: 1
    .uses_dynamic_stack: false
    .vgpr_count:     32
    .vgpr_spill_count: 0
    .wavefront_size: 64
  - .agpr_count:     0
    .args:
      - .offset:         0
        .size:           8
        .value_kind:     by_value
      - .offset:         8
        .size:           8
        .value_kind:     by_value
      - .address_space:  global
        .offset:         16
        .size:           8
        .value_kind:     global_buffer
      - .offset:         24
        .size:           8
        .value_kind:     by_value
      - .address_space:  global
        .offset:         32
        .size:           8
        .value_kind:     global_buffer
      - .offset:         40
        .size:           8
        .value_kind:     by_value
    .group_segment_fixed_size: 16384
    .kernarg_segment_align: 8
    .kernarg_segment_size: 48
    .language:       OpenCL C
    .language_version:
      - 2
      - 0
    .max_flat_workgroup_size: 256
    .name:           _ZN9rocsparseL27dense_transpose_back_kernelILj32ELj8El21rocsparse_complex_numIdEEEvT1_S3_PKT2_lPS4_l
    .private_segment_fixed_size: 0
    .sgpr_count:     30
    .sgpr_spill_count: 0
    .symbol:         _ZN9rocsparseL27dense_transpose_back_kernelILj32ELj8El21rocsparse_complex_numIdEEEvT1_S3_PKT2_lPS4_l.kd
    .uniform_work_group_size: 1
    .uses_dynamic_stack: false
    .vgpr_count:     40
    .vgpr_spill_count: 0
    .wavefront_size: 64
  - .agpr_count:     0
    .args:
      - .offset:         0
        .size:           4
        .value_kind:     by_value
      - .address_space:  global
        .offset:         8
        .size:           8
        .value_kind:     global_buffer
    .group_segment_fixed_size: 0
    .kernarg_segment_align: 8
    .kernarg_segment_size: 16
    .language:       OpenCL C
    .language_version:
      - 2
      - 0
    .max_flat_workgroup_size: 256
    .name:           _ZN9rocsparseL16conjugate_kernelILj256EifEEvT0_PT1_
    .private_segment_fixed_size: 0
    .sgpr_count:     6
    .sgpr_spill_count: 0
    .symbol:         _ZN9rocsparseL16conjugate_kernelILj256EifEEvT0_PT1_.kd
    .uniform_work_group_size: 1
    .uses_dynamic_stack: false
    .vgpr_count:     0
    .vgpr_spill_count: 0
    .wavefront_size: 64
  - .agpr_count:     0
    .args:
      - .offset:         0
        .size:           4
        .value_kind:     by_value
      - .address_space:  global
        .offset:         8
        .size:           8
        .value_kind:     global_buffer
    .group_segment_fixed_size: 0
    .kernarg_segment_align: 8
    .kernarg_segment_size: 16
    .language:       OpenCL C
    .language_version:
      - 2
      - 0
    .max_flat_workgroup_size: 256
    .name:           _ZN9rocsparseL16conjugate_kernelILj256EidEEvT0_PT1_
    .private_segment_fixed_size: 0
    .sgpr_count:     6
    .sgpr_spill_count: 0
    .symbol:         _ZN9rocsparseL16conjugate_kernelILj256EidEEvT0_PT1_.kd
    .uniform_work_group_size: 1
    .uses_dynamic_stack: false
    .vgpr_count:     0
    .vgpr_spill_count: 0
    .wavefront_size: 64
  - .agpr_count:     0
    .args:
      - .offset:         0
        .size:           4
        .value_kind:     by_value
      - .address_space:  global
        .offset:         8
        .size:           8
        .value_kind:     global_buffer
    .group_segment_fixed_size: 0
    .kernarg_segment_align: 8
    .kernarg_segment_size: 16
    .language:       OpenCL C
    .language_version:
      - 2
      - 0
    .max_flat_workgroup_size: 256
    .name:           _ZN9rocsparseL16conjugate_kernelILj256Ei21rocsparse_complex_numIfEEEvT0_PT1_
    .private_segment_fixed_size: 0
    .sgpr_count:     10
    .sgpr_spill_count: 0
    .symbol:         _ZN9rocsparseL16conjugate_kernelILj256Ei21rocsparse_complex_numIfEEEvT0_PT1_.kd
    .uniform_work_group_size: 1
    .uses_dynamic_stack: false
    .vgpr_count:     3
    .vgpr_spill_count: 0
    .wavefront_size: 64
  - .agpr_count:     0
    .args:
      - .offset:         0
        .size:           4
        .value_kind:     by_value
      - .address_space:  global
        .offset:         8
        .size:           8
        .value_kind:     global_buffer
    .group_segment_fixed_size: 0
    .kernarg_segment_align: 8
    .kernarg_segment_size: 16
    .language:       OpenCL C
    .language_version:
      - 2
      - 0
    .max_flat_workgroup_size: 256
    .name:           _ZN9rocsparseL16conjugate_kernelILj256Ei21rocsparse_complex_numIdEEEvT0_PT1_
    .private_segment_fixed_size: 0
    .sgpr_count:     10
    .sgpr_spill_count: 0
    .symbol:         _ZN9rocsparseL16conjugate_kernelILj256Ei21rocsparse_complex_numIdEEEvT0_PT1_.kd
    .uniform_work_group_size: 1
    .uses_dynamic_stack: false
    .vgpr_count:     4
    .vgpr_spill_count: 0
    .wavefront_size: 64
  - .agpr_count:     0
    .args:
      - .offset:         0
        .size:           8
        .value_kind:     by_value
      - .address_space:  global
        .offset:         8
        .size:           8
        .value_kind:     global_buffer
    .group_segment_fixed_size: 0
    .kernarg_segment_align: 8
    .kernarg_segment_size: 16
    .language:       OpenCL C
    .language_version:
      - 2
      - 0
    .max_flat_workgroup_size: 256
    .name:           _ZN9rocsparseL16conjugate_kernelILj256ElfEEvT0_PT1_
    .private_segment_fixed_size: 0
    .sgpr_count:     6
    .sgpr_spill_count: 0
    .symbol:         _ZN9rocsparseL16conjugate_kernelILj256ElfEEvT0_PT1_.kd
    .uniform_work_group_size: 1
    .uses_dynamic_stack: false
    .vgpr_count:     0
    .vgpr_spill_count: 0
    .wavefront_size: 64
  - .agpr_count:     0
    .args:
      - .offset:         0
        .size:           8
        .value_kind:     by_value
      - .address_space:  global
        .offset:         8
        .size:           8
        .value_kind:     global_buffer
    .group_segment_fixed_size: 0
    .kernarg_segment_align: 8
    .kernarg_segment_size: 16
    .language:       OpenCL C
    .language_version:
      - 2
      - 0
    .max_flat_workgroup_size: 256
    .name:           _ZN9rocsparseL16conjugate_kernelILj256EldEEvT0_PT1_
    .private_segment_fixed_size: 0
    .sgpr_count:     6
    .sgpr_spill_count: 0
    .symbol:         _ZN9rocsparseL16conjugate_kernelILj256EldEEvT0_PT1_.kd
    .uniform_work_group_size: 1
    .uses_dynamic_stack: false
    .vgpr_count:     0
    .vgpr_spill_count: 0
    .wavefront_size: 64
  - .agpr_count:     0
    .args:
      - .offset:         0
        .size:           8
        .value_kind:     by_value
      - .address_space:  global
        .offset:         8
        .size:           8
        .value_kind:     global_buffer
    .group_segment_fixed_size: 0
    .kernarg_segment_align: 8
    .kernarg_segment_size: 16
    .language:       OpenCL C
    .language_version:
      - 2
      - 0
    .max_flat_workgroup_size: 256
    .name:           _ZN9rocsparseL16conjugate_kernelILj256El21rocsparse_complex_numIfEEEvT0_PT1_
    .private_segment_fixed_size: 0
    .sgpr_count:     14
    .sgpr_spill_count: 0
    .symbol:         _ZN9rocsparseL16conjugate_kernelILj256El21rocsparse_complex_numIfEEEvT0_PT1_.kd
    .uniform_work_group_size: 1
    .uses_dynamic_stack: false
    .vgpr_count:     4
    .vgpr_spill_count: 0
    .wavefront_size: 64
  - .agpr_count:     0
    .args:
      - .offset:         0
        .size:           8
        .value_kind:     by_value
      - .address_space:  global
        .offset:         8
        .size:           8
        .value_kind:     global_buffer
    .group_segment_fixed_size: 0
    .kernarg_segment_align: 8
    .kernarg_segment_size: 16
    .language:       OpenCL C
    .language_version:
      - 2
      - 0
    .max_flat_workgroup_size: 256
    .name:           _ZN9rocsparseL16conjugate_kernelILj256El21rocsparse_complex_numIdEEEvT0_PT1_
    .private_segment_fixed_size: 0
    .sgpr_count:     14
    .sgpr_spill_count: 0
    .symbol:         _ZN9rocsparseL16conjugate_kernelILj256El21rocsparse_complex_numIdEEEvT0_PT1_.kd
    .uniform_work_group_size: 1
    .uses_dynamic_stack: false
    .vgpr_count:     4
    .vgpr_spill_count: 0
    .wavefront_size: 64
  - .agpr_count:     0
    .args:
      - .offset:         0
        .size:           4
        .value_kind:     by_value
      - .offset:         4
        .size:           4
        .value_kind:     by_value
      - .address_space:  global
        .offset:         8
        .size:           8
        .value_kind:     global_buffer
    .group_segment_fixed_size: 0
    .kernarg_segment_align: 8
    .kernarg_segment_size: 16
    .language:       OpenCL C
    .language_version:
      - 2
      - 0
    .max_flat_workgroup_size: 256
    .name:           _ZN9rocsparseL13valset_kernelILj256EiiEEvT0_T1_PS2_
    .private_segment_fixed_size: 0
    .sgpr_count:     12
    .sgpr_spill_count: 0
    .symbol:         _ZN9rocsparseL13valset_kernelILj256EiiEEvT0_T1_PS2_.kd
    .uniform_work_group_size: 1
    .uses_dynamic_stack: false
    .vgpr_count:     3
    .vgpr_spill_count: 0
    .wavefront_size: 64
  - .agpr_count:     0
    .args:
      - .offset:         0
        .size:           4
        .value_kind:     by_value
      - .offset:         8
        .size:           8
        .value_kind:     by_value
      - .address_space:  global
        .offset:         16
        .size:           8
        .value_kind:     global_buffer
    .group_segment_fixed_size: 0
    .kernarg_segment_align: 8
    .kernarg_segment_size: 24
    .language:       OpenCL C
    .language_version:
      - 2
      - 0
    .max_flat_workgroup_size: 256
    .name:           _ZN9rocsparseL13valset_kernelILj256EilEEvT0_T1_PS2_
    .private_segment_fixed_size: 0
    .sgpr_count:     14
    .sgpr_spill_count: 0
    .symbol:         _ZN9rocsparseL13valset_kernelILj256EilEEvT0_T1_PS2_.kd
    .uniform_work_group_size: 1
    .uses_dynamic_stack: false
    .vgpr_count:     6
    .vgpr_spill_count: 0
    .wavefront_size: 64
  - .agpr_count:     0
    .args:
      - .offset:         0
        .size:           8
        .value_kind:     by_value
      - .offset:         8
        .size:           4
        .value_kind:     by_value
      - .address_space:  global
        .offset:         16
        .size:           8
        .value_kind:     global_buffer
    .group_segment_fixed_size: 0
    .kernarg_segment_align: 8
    .kernarg_segment_size: 24
    .language:       OpenCL C
    .language_version:
      - 2
      - 0
    .max_flat_workgroup_size: 256
    .name:           _ZN9rocsparseL13valset_kernelILj256EliEEvT0_T1_PS2_
    .private_segment_fixed_size: 0
    .sgpr_count:     12
    .sgpr_spill_count: 0
    .symbol:         _ZN9rocsparseL13valset_kernelILj256EliEEvT0_T1_PS2_.kd
    .uniform_work_group_size: 1
    .uses_dynamic_stack: false
    .vgpr_count:     3
    .vgpr_spill_count: 0
    .wavefront_size: 64
  - .agpr_count:     0
    .args:
      - .offset:         0
        .size:           8
        .value_kind:     by_value
      - .offset:         8
        .size:           8
        .value_kind:     by_value
      - .address_space:  global
        .offset:         16
        .size:           8
        .value_kind:     global_buffer
    .group_segment_fixed_size: 0
    .kernarg_segment_align: 8
    .kernarg_segment_size: 24
    .language:       OpenCL C
    .language_version:
      - 2
      - 0
    .max_flat_workgroup_size: 256
    .name:           _ZN9rocsparseL13valset_kernelILj256EllEEvT0_T1_PS2_
    .private_segment_fixed_size: 0
    .sgpr_count:     14
    .sgpr_spill_count: 0
    .symbol:         _ZN9rocsparseL13valset_kernelILj256EllEEvT0_T1_PS2_.kd
    .uniform_work_group_size: 1
    .uses_dynamic_stack: false
    .vgpr_count:     6
    .vgpr_spill_count: 0
    .wavefront_size: 64
  - .agpr_count:     0
    .args:
      - .offset:         0
        .size:           4
        .value_kind:     by_value
      - .offset:         4
        .size:           4
        .value_kind:     by_value
      - .offset:         8
        .size:           8
        .value_kind:     by_value
      - .offset:         16
        .size:           2
        .value_kind:     by_value
      - .address_space:  global
        .offset:         24
        .size:           8
        .value_kind:     global_buffer
      - .offset:         32
        .size:           4
        .value_kind:     by_value
    .group_segment_fixed_size: 0
    .kernarg_segment_align: 8
    .kernarg_segment_size: 36
    .language:       OpenCL C
    .language_version:
      - 2
      - 0
    .max_flat_workgroup_size: 256
    .name:           _ZN9rocsparseL16valset_2d_kernelILj256EiDF16_EEvT0_S1_lT1_PS2_16rocsparse_order_
    .private_segment_fixed_size: 0
    .sgpr_count:     15
    .sgpr_spill_count: 0
    .symbol:         _ZN9rocsparseL16valset_2d_kernelILj256EiDF16_EEvT0_S1_lT1_PS2_16rocsparse_order_.kd
    .uniform_work_group_size: 1
    .uses_dynamic_stack: false
    .vgpr_count:     6
    .vgpr_spill_count: 0
    .wavefront_size: 64
  - .agpr_count:     0
    .args:
      - .offset:         0
        .size:           4
        .value_kind:     by_value
      - .offset:         4
        .size:           4
        .value_kind:     by_value
      - .offset:         8
        .size:           8
        .value_kind:     by_value
      - .offset:         16
        .size:           2
        .value_kind:     by_value
      - .address_space:  global
        .offset:         24
        .size:           8
        .value_kind:     global_buffer
      - .offset:         32
        .size:           4
        .value_kind:     by_value
    .group_segment_fixed_size: 0
    .kernarg_segment_align: 8
    .kernarg_segment_size: 36
    .language:       OpenCL C
    .language_version:
      - 2
      - 0
    .max_flat_workgroup_size: 256
    .name:           _ZN9rocsparseL16valset_2d_kernelILj256Ei18rocsparse_bfloat16EEvT0_S2_lT1_PS3_16rocsparse_order_
    .private_segment_fixed_size: 0
    .sgpr_count:     15
    .sgpr_spill_count: 0
    .symbol:         _ZN9rocsparseL16valset_2d_kernelILj256Ei18rocsparse_bfloat16EEvT0_S2_lT1_PS3_16rocsparse_order_.kd
    .uniform_work_group_size: 1
    .uses_dynamic_stack: false
    .vgpr_count:     6
    .vgpr_spill_count: 0
    .wavefront_size: 64
  - .agpr_count:     0
    .args:
      - .offset:         0
        .size:           4
        .value_kind:     by_value
      - .offset:         4
        .size:           4
        .value_kind:     by_value
      - .offset:         8
        .size:           8
        .value_kind:     by_value
      - .offset:         16
        .size:           4
        .value_kind:     by_value
      - .address_space:  global
        .offset:         24
        .size:           8
        .value_kind:     global_buffer
      - .offset:         32
        .size:           4
        .value_kind:     by_value
    .group_segment_fixed_size: 0
    .kernarg_segment_align: 8
    .kernarg_segment_size: 36
    .language:       OpenCL C
    .language_version:
      - 2
      - 0
    .max_flat_workgroup_size: 256
    .name:           _ZN9rocsparseL16valset_2d_kernelILj256EifEEvT0_S1_lT1_PS2_16rocsparse_order_
    .private_segment_fixed_size: 0
    .sgpr_count:     15
    .sgpr_spill_count: 0
    .symbol:         _ZN9rocsparseL16valset_2d_kernelILj256EifEEvT0_S1_lT1_PS2_16rocsparse_order_.kd
    .uniform_work_group_size: 1
    .uses_dynamic_stack: false
    .vgpr_count:     6
    .vgpr_spill_count: 0
    .wavefront_size: 64
  - .agpr_count:     0
    .args:
      - .offset:         0
        .size:           4
        .value_kind:     by_value
      - .offset:         4
        .size:           4
        .value_kind:     by_value
      - .offset:         8
        .size:           8
        .value_kind:     by_value
      - .offset:         16
        .size:           8
        .value_kind:     by_value
      - .address_space:  global
        .offset:         24
        .size:           8
        .value_kind:     global_buffer
      - .offset:         32
        .size:           4
        .value_kind:     by_value
    .group_segment_fixed_size: 0
    .kernarg_segment_align: 8
    .kernarg_segment_size: 36
    .language:       OpenCL C
    .language_version:
      - 2
      - 0
    .max_flat_workgroup_size: 256
    .name:           _ZN9rocsparseL16valset_2d_kernelILj256EidEEvT0_S1_lT1_PS2_16rocsparse_order_
    .private_segment_fixed_size: 0
    .sgpr_count:     16
    .sgpr_spill_count: 0
    .symbol:         _ZN9rocsparseL16valset_2d_kernelILj256EidEEvT0_S1_lT1_PS2_16rocsparse_order_.kd
    .uniform_work_group_size: 1
    .uses_dynamic_stack: false
    .vgpr_count:     8
    .vgpr_spill_count: 0
    .wavefront_size: 64
  - .agpr_count:     0
    .args:
      - .offset:         0
        .size:           4
        .value_kind:     by_value
      - .offset:         4
        .size:           4
        .value_kind:     by_value
      - .offset:         8
        .size:           8
        .value_kind:     by_value
      - .offset:         16
        .size:           8
        .value_kind:     by_value
      - .address_space:  global
        .offset:         24
        .size:           8
        .value_kind:     global_buffer
      - .offset:         32
        .size:           4
        .value_kind:     by_value
    .group_segment_fixed_size: 0
    .kernarg_segment_align: 8
    .kernarg_segment_size: 36
    .language:       OpenCL C
    .language_version:
      - 2
      - 0
    .max_flat_workgroup_size: 256
    .name:           _ZN9rocsparseL16valset_2d_kernelILj256Ei21rocsparse_complex_numIfEEEvT0_S3_lT1_PS4_16rocsparse_order_
    .private_segment_fixed_size: 0
    .sgpr_count:     16
    .sgpr_spill_count: 0
    .symbol:         _ZN9rocsparseL16valset_2d_kernelILj256Ei21rocsparse_complex_numIfEEEvT0_S3_lT1_PS4_16rocsparse_order_.kd
    .uniform_work_group_size: 1
    .uses_dynamic_stack: false
    .vgpr_count:     6
    .vgpr_spill_count: 0
    .wavefront_size: 64
  - .agpr_count:     0
    .args:
      - .offset:         0
        .size:           4
        .value_kind:     by_value
      - .offset:         4
        .size:           4
        .value_kind:     by_value
      - .offset:         8
        .size:           8
        .value_kind:     by_value
      - .offset:         16
        .size:           16
        .value_kind:     by_value
      - .address_space:  global
        .offset:         32
        .size:           8
        .value_kind:     global_buffer
      - .offset:         40
        .size:           4
        .value_kind:     by_value
    .group_segment_fixed_size: 0
    .kernarg_segment_align: 8
    .kernarg_segment_size: 44
    .language:       OpenCL C
    .language_version:
      - 2
      - 0
    .max_flat_workgroup_size: 256
    .name:           _ZN9rocsparseL16valset_2d_kernelILj256Ei21rocsparse_complex_numIdEEEvT0_S3_lT1_PS4_16rocsparse_order_
    .private_segment_fixed_size: 0
    .sgpr_count:     18
    .sgpr_spill_count: 0
    .symbol:         _ZN9rocsparseL16valset_2d_kernelILj256Ei21rocsparse_complex_numIdEEEvT0_S3_lT1_PS4_16rocsparse_order_.kd
    .uniform_work_group_size: 1
    .uses_dynamic_stack: false
    .vgpr_count:     6
    .vgpr_spill_count: 0
    .wavefront_size: 64
  - .agpr_count:     0
    .args:
      - .offset:         0
        .size:           8
        .value_kind:     by_value
      - .offset:         8
        .size:           8
        .value_kind:     by_value
      - .offset:         16
        .size:           8
        .value_kind:     by_value
      - .offset:         24
        .size:           2
        .value_kind:     by_value
      - .address_space:  global
        .offset:         32
        .size:           8
        .value_kind:     global_buffer
      - .offset:         40
        .size:           4
        .value_kind:     by_value
    .group_segment_fixed_size: 0
    .kernarg_segment_align: 8
    .kernarg_segment_size: 44
    .language:       OpenCL C
    .language_version:
      - 2
      - 0
    .max_flat_workgroup_size: 256
    .name:           _ZN9rocsparseL16valset_2d_kernelILj256ElDF16_EEvT0_S1_lT1_PS2_16rocsparse_order_
    .private_segment_fixed_size: 0
    .sgpr_count:     27
    .sgpr_spill_count: 0
    .symbol:         _ZN9rocsparseL16valset_2d_kernelILj256ElDF16_EEvT0_S1_lT1_PS2_16rocsparse_order_.kd
    .uniform_work_group_size: 1
    .uses_dynamic_stack: false
    .vgpr_count:     12
    .vgpr_spill_count: 0
    .wavefront_size: 64
  - .agpr_count:     0
    .args:
      - .offset:         0
        .size:           8
        .value_kind:     by_value
      - .offset:         8
        .size:           8
        .value_kind:     by_value
      - .offset:         16
        .size:           8
        .value_kind:     by_value
      - .offset:         24
        .size:           2
        .value_kind:     by_value
      - .address_space:  global
        .offset:         32
        .size:           8
        .value_kind:     global_buffer
      - .offset:         40
        .size:           4
        .value_kind:     by_value
    .group_segment_fixed_size: 0
    .kernarg_segment_align: 8
    .kernarg_segment_size: 44
    .language:       OpenCL C
    .language_version:
      - 2
      - 0
    .max_flat_workgroup_size: 256
    .name:           _ZN9rocsparseL16valset_2d_kernelILj256El18rocsparse_bfloat16EEvT0_S2_lT1_PS3_16rocsparse_order_
    .private_segment_fixed_size: 0
    .sgpr_count:     27
    .sgpr_spill_count: 0
    .symbol:         _ZN9rocsparseL16valset_2d_kernelILj256El18rocsparse_bfloat16EEvT0_S2_lT1_PS3_16rocsparse_order_.kd
    .uniform_work_group_size: 1
    .uses_dynamic_stack: false
    .vgpr_count:     12
    .vgpr_spill_count: 0
    .wavefront_size: 64
  - .agpr_count:     0
    .args:
      - .offset:         0
        .size:           8
        .value_kind:     by_value
      - .offset:         8
        .size:           8
        .value_kind:     by_value
      - .offset:         16
        .size:           8
        .value_kind:     by_value
      - .offset:         24
        .size:           4
        .value_kind:     by_value
      - .address_space:  global
        .offset:         32
        .size:           8
        .value_kind:     global_buffer
      - .offset:         40
        .size:           4
        .value_kind:     by_value
    .group_segment_fixed_size: 0
    .kernarg_segment_align: 8
    .kernarg_segment_size: 44
    .language:       OpenCL C
    .language_version:
      - 2
      - 0
    .max_flat_workgroup_size: 256
    .name:           _ZN9rocsparseL16valset_2d_kernelILj256ElfEEvT0_S1_lT1_PS2_16rocsparse_order_
    .private_segment_fixed_size: 0
    .sgpr_count:     27
    .sgpr_spill_count: 0
    .symbol:         _ZN9rocsparseL16valset_2d_kernelILj256ElfEEvT0_S1_lT1_PS2_16rocsparse_order_.kd
    .uniform_work_group_size: 1
    .uses_dynamic_stack: false
    .vgpr_count:     12
    .vgpr_spill_count: 0
    .wavefront_size: 64
  - .agpr_count:     0
    .args:
      - .offset:         0
        .size:           8
        .value_kind:     by_value
      - .offset:         8
        .size:           8
        .value_kind:     by_value
      - .offset:         16
        .size:           8
        .value_kind:     by_value
      - .offset:         24
        .size:           8
        .value_kind:     by_value
      - .address_space:  global
        .offset:         32
        .size:           8
        .value_kind:     global_buffer
      - .offset:         40
        .size:           4
        .value_kind:     by_value
    .group_segment_fixed_size: 0
    .kernarg_segment_align: 8
    .kernarg_segment_size: 44
    .language:       OpenCL C
    .language_version:
      - 2
      - 0
    .max_flat_workgroup_size: 256
    .name:           _ZN9rocsparseL16valset_2d_kernelILj256EldEEvT0_S1_lT1_PS2_16rocsparse_order_
    .private_segment_fixed_size: 0
    .sgpr_count:     29
    .sgpr_spill_count: 0
    .symbol:         _ZN9rocsparseL16valset_2d_kernelILj256EldEEvT0_S1_lT1_PS2_16rocsparse_order_.kd
    .uniform_work_group_size: 1
    .uses_dynamic_stack: false
    .vgpr_count:     12
    .vgpr_spill_count: 0
    .wavefront_size: 64
  - .agpr_count:     0
    .args:
      - .offset:         0
        .size:           8
        .value_kind:     by_value
      - .offset:         8
        .size:           8
        .value_kind:     by_value
      - .offset:         16
        .size:           8
        .value_kind:     by_value
      - .offset:         24
        .size:           8
        .value_kind:     by_value
      - .address_space:  global
        .offset:         32
        .size:           8
        .value_kind:     global_buffer
      - .offset:         40
        .size:           4
        .value_kind:     by_value
    .group_segment_fixed_size: 0
    .kernarg_segment_align: 8
    .kernarg_segment_size: 44
    .language:       OpenCL C
    .language_version:
      - 2
      - 0
    .max_flat_workgroup_size: 256
    .name:           _ZN9rocsparseL16valset_2d_kernelILj256El21rocsparse_complex_numIfEEEvT0_S3_lT1_PS4_16rocsparse_order_
    .private_segment_fixed_size: 0
    .sgpr_count:     27
    .sgpr_spill_count: 0
    .symbol:         _ZN9rocsparseL16valset_2d_kernelILj256El21rocsparse_complex_numIfEEEvT0_S3_lT1_PS4_16rocsparse_order_.kd
    .uniform_work_group_size: 1
    .uses_dynamic_stack: false
    .vgpr_count:     12
    .vgpr_spill_count: 0
    .wavefront_size: 64
  - .agpr_count:     0
    .args:
      - .offset:         0
        .size:           8
        .value_kind:     by_value
      - .offset:         8
        .size:           8
        .value_kind:     by_value
      - .offset:         16
        .size:           8
        .value_kind:     by_value
      - .offset:         24
        .size:           16
        .value_kind:     by_value
      - .address_space:  global
        .offset:         40
        .size:           8
        .value_kind:     global_buffer
      - .offset:         48
        .size:           4
        .value_kind:     by_value
    .group_segment_fixed_size: 0
    .kernarg_segment_align: 8
    .kernarg_segment_size: 52
    .language:       OpenCL C
    .language_version:
      - 2
      - 0
    .max_flat_workgroup_size: 256
    .name:           _ZN9rocsparseL16valset_2d_kernelILj256El21rocsparse_complex_numIdEEEvT0_S3_lT1_PS4_16rocsparse_order_
    .private_segment_fixed_size: 0
    .sgpr_count:     27
    .sgpr_spill_count: 0
    .symbol:         _ZN9rocsparseL16valset_2d_kernelILj256El21rocsparse_complex_numIdEEEvT0_S3_lT1_PS4_16rocsparse_order_.kd
    .uniform_work_group_size: 1
    .uses_dynamic_stack: false
    .vgpr_count:     12
    .vgpr_spill_count: 0
    .wavefront_size: 64
  - .agpr_count:     0
    .args:
      - .offset:         0
        .size:           4
        .value_kind:     by_value
      - .offset:         8
        .size:           8
        .value_kind:     by_value
      - .actual_access:  write_only
        .address_space:  global
        .offset:         16
        .size:           8
        .value_kind:     global_buffer
      - .offset:         24
        .size:           1
        .value_kind:     by_value
    .group_segment_fixed_size: 0
    .kernarg_segment_align: 8
    .kernarg_segment_size: 28
    .language:       OpenCL C
    .language_version:
      - 2
      - 0
    .max_flat_workgroup_size: 256
    .name:           _ZN9rocsparseL12scale_kernelILj256Ei18rocsparse_bfloat16fEEvT0_NS_24const_host_device_scalarIT2_EEPT1_b
    .private_segment_fixed_size: 0
    .sgpr_count:     14
    .sgpr_spill_count: 0
    .symbol:         _ZN9rocsparseL12scale_kernelILj256Ei18rocsparse_bfloat16fEEvT0_NS_24const_host_device_scalarIT2_EEPT1_b.kd
    .uniform_work_group_size: 1
    .uses_dynamic_stack: false
    .vgpr_count:     3
    .vgpr_spill_count: 0
    .wavefront_size: 64
  - .agpr_count:     0
    .args:
      - .offset:         0
        .size:           4
        .value_kind:     by_value
      - .offset:         8
        .size:           8
        .value_kind:     by_value
      - .address_space:  global
        .offset:         16
        .size:           8
        .value_kind:     global_buffer
      - .offset:         24
        .size:           1
        .value_kind:     by_value
    .group_segment_fixed_size: 0
    .kernarg_segment_align: 8
    .kernarg_segment_size: 28
    .language:       OpenCL C
    .language_version:
      - 2
      - 0
    .max_flat_workgroup_size: 256
    .name:           _ZN9rocsparseL12scale_kernelILj256EiDF16_fEEvT0_NS_24const_host_device_scalarIT2_EEPT1_b
    .private_segment_fixed_size: 0
    .sgpr_count:     14
    .sgpr_spill_count: 0
    .symbol:         _ZN9rocsparseL12scale_kernelILj256EiDF16_fEEvT0_NS_24const_host_device_scalarIT2_EEPT1_b.kd
    .uniform_work_group_size: 1
    .uses_dynamic_stack: false
    .vgpr_count:     3
    .vgpr_spill_count: 0
    .wavefront_size: 64
  - .agpr_count:     0
    .args:
      - .offset:         0
        .size:           4
        .value_kind:     by_value
      - .offset:         8
        .size:           8
        .value_kind:     by_value
      - .address_space:  global
        .offset:         16
        .size:           8
        .value_kind:     global_buffer
      - .offset:         24
        .size:           1
        .value_kind:     by_value
    .group_segment_fixed_size: 0
    .kernarg_segment_align: 8
    .kernarg_segment_size: 28
    .language:       OpenCL C
    .language_version:
      - 2
      - 0
    .max_flat_workgroup_size: 256
    .name:           _ZN9rocsparseL12scale_kernelILj256EiiiEEvT0_NS_24const_host_device_scalarIT2_EEPT1_b
    .private_segment_fixed_size: 0
    .sgpr_count:     12
    .sgpr_spill_count: 0
    .symbol:         _ZN9rocsparseL12scale_kernelILj256EiiiEEvT0_NS_24const_host_device_scalarIT2_EEPT1_b.kd
    .uniform_work_group_size: 1
    .uses_dynamic_stack: false
    .vgpr_count:     3
    .vgpr_spill_count: 0
    .wavefront_size: 64
  - .agpr_count:     0
    .args:
      - .offset:         0
        .size:           4
        .value_kind:     by_value
      - .offset:         8
        .size:           8
        .value_kind:     by_value
      - .address_space:  global
        .offset:         16
        .size:           8
        .value_kind:     global_buffer
      - .offset:         24
        .size:           1
        .value_kind:     by_value
    .group_segment_fixed_size: 0
    .kernarg_segment_align: 8
    .kernarg_segment_size: 28
    .language:       OpenCL C
    .language_version:
      - 2
      - 0
    .max_flat_workgroup_size: 256
    .name:           _ZN9rocsparseL12scale_kernelILj256EiffEEvT0_NS_24const_host_device_scalarIT2_EEPT1_b
    .private_segment_fixed_size: 0
    .sgpr_count:     14
    .sgpr_spill_count: 0
    .symbol:         _ZN9rocsparseL12scale_kernelILj256EiffEEvT0_NS_24const_host_device_scalarIT2_EEPT1_b.kd
    .uniform_work_group_size: 1
    .uses_dynamic_stack: false
    .vgpr_count:     3
    .vgpr_spill_count: 0
    .wavefront_size: 64
  - .agpr_count:     0
    .args:
      - .offset:         0
        .size:           4
        .value_kind:     by_value
      - .offset:         8
        .size:           8
        .value_kind:     by_value
      - .address_space:  global
        .offset:         16
        .size:           8
        .value_kind:     global_buffer
      - .offset:         24
        .size:           1
        .value_kind:     by_value
    .group_segment_fixed_size: 0
    .kernarg_segment_align: 8
    .kernarg_segment_size: 28
    .language:       OpenCL C
    .language_version:
      - 2
      - 0
    .max_flat_workgroup_size: 256
    .name:           _ZN9rocsparseL12scale_kernelILj256EiddEEvT0_NS_24const_host_device_scalarIT2_EEPT1_b
    .private_segment_fixed_size: 0
    .sgpr_count:     14
    .sgpr_spill_count: 0
    .symbol:         _ZN9rocsparseL12scale_kernelILj256EiddEEvT0_NS_24const_host_device_scalarIT2_EEPT1_b.kd
    .uniform_work_group_size: 1
    .uses_dynamic_stack: false
    .vgpr_count:     6
    .vgpr_spill_count: 0
    .wavefront_size: 64
  - .agpr_count:     0
    .args:
      - .offset:         0
        .size:           4
        .value_kind:     by_value
      - .offset:         8
        .size:           8
        .value_kind:     by_value
      - .address_space:  global
        .offset:         16
        .size:           8
        .value_kind:     global_buffer
      - .offset:         24
        .size:           1
        .value_kind:     by_value
    .group_segment_fixed_size: 0
    .kernarg_segment_align: 8
    .kernarg_segment_size: 28
    .language:       OpenCL C
    .language_version:
      - 2
      - 0
    .max_flat_workgroup_size: 256
    .name:           _ZN9rocsparseL12scale_kernelILj256Ei21rocsparse_complex_numIfES2_EEvT0_NS_24const_host_device_scalarIT2_EEPT1_b
    .private_segment_fixed_size: 0
    .sgpr_count:     14
    .sgpr_spill_count: 0
    .symbol:         _ZN9rocsparseL12scale_kernelILj256Ei21rocsparse_complex_numIfES2_EEvT0_NS_24const_host_device_scalarIT2_EEPT1_b.kd
    .uniform_work_group_size: 1
    .uses_dynamic_stack: false
    .vgpr_count:     10
    .vgpr_spill_count: 0
    .wavefront_size: 64
  - .agpr_count:     0
    .args:
      - .offset:         0
        .size:           4
        .value_kind:     by_value
      - .offset:         8
        .size:           16
        .value_kind:     by_value
      - .address_space:  global
        .offset:         24
        .size:           8
        .value_kind:     global_buffer
      - .offset:         32
        .size:           1
        .value_kind:     by_value
    .group_segment_fixed_size: 0
    .kernarg_segment_align: 8
    .kernarg_segment_size: 36
    .language:       OpenCL C
    .language_version:
      - 2
      - 0
    .max_flat_workgroup_size: 256
    .name:           _ZN9rocsparseL12scale_kernelILj256Ei21rocsparse_complex_numIdES2_EEvT0_NS_24const_host_device_scalarIT2_EEPT1_b
    .private_segment_fixed_size: 0
    .sgpr_count:     14
    .sgpr_spill_count: 0
    .symbol:         _ZN9rocsparseL12scale_kernelILj256Ei21rocsparse_complex_numIdES2_EEvT0_NS_24const_host_device_scalarIT2_EEPT1_b.kd
    .uniform_work_group_size: 1
    .uses_dynamic_stack: false
    .vgpr_count:     14
    .vgpr_spill_count: 0
    .wavefront_size: 64
  - .agpr_count:     0
    .args:
      - .offset:         0
        .size:           8
        .value_kind:     by_value
      - .offset:         8
        .size:           8
        .value_kind:     by_value
      - .actual_access:  write_only
        .address_space:  global
        .offset:         16
        .size:           8
        .value_kind:     global_buffer
      - .offset:         24
        .size:           1
        .value_kind:     by_value
    .group_segment_fixed_size: 0
    .kernarg_segment_align: 8
    .kernarg_segment_size: 28
    .language:       OpenCL C
    .language_version:
      - 2
      - 0
    .max_flat_workgroup_size: 256
    .name:           _ZN9rocsparseL12scale_kernelILj256El18rocsparse_bfloat16fEEvT0_NS_24const_host_device_scalarIT2_EEPT1_b
    .private_segment_fixed_size: 0
    .sgpr_count:     16
    .sgpr_spill_count: 0
    .symbol:         _ZN9rocsparseL12scale_kernelILj256El18rocsparse_bfloat16fEEvT0_NS_24const_host_device_scalarIT2_EEPT1_b.kd
    .uniform_work_group_size: 1
    .uses_dynamic_stack: false
    .vgpr_count:     4
    .vgpr_spill_count: 0
    .wavefront_size: 64
  - .agpr_count:     0
    .args:
      - .offset:         0
        .size:           8
        .value_kind:     by_value
      - .offset:         8
        .size:           8
        .value_kind:     by_value
      - .address_space:  global
        .offset:         16
        .size:           8
        .value_kind:     global_buffer
      - .offset:         24
        .size:           1
        .value_kind:     by_value
    .group_segment_fixed_size: 0
    .kernarg_segment_align: 8
    .kernarg_segment_size: 28
    .language:       OpenCL C
    .language_version:
      - 2
      - 0
    .max_flat_workgroup_size: 256
    .name:           _ZN9rocsparseL12scale_kernelILj256ElDF16_fEEvT0_NS_24const_host_device_scalarIT2_EEPT1_b
    .private_segment_fixed_size: 0
    .sgpr_count:     16
    .sgpr_spill_count: 0
    .symbol:         _ZN9rocsparseL12scale_kernelILj256ElDF16_fEEvT0_NS_24const_host_device_scalarIT2_EEPT1_b.kd
    .uniform_work_group_size: 1
    .uses_dynamic_stack: false
    .vgpr_count:     4
    .vgpr_spill_count: 0
    .wavefront_size: 64
  - .agpr_count:     0
    .args:
      - .offset:         0
        .size:           8
        .value_kind:     by_value
      - .offset:         8
        .size:           8
        .value_kind:     by_value
      - .address_space:  global
        .offset:         16
        .size:           8
        .value_kind:     global_buffer
      - .offset:         24
        .size:           1
        .value_kind:     by_value
    .group_segment_fixed_size: 0
    .kernarg_segment_align: 8
    .kernarg_segment_size: 28
    .language:       OpenCL C
    .language_version:
      - 2
      - 0
    .max_flat_workgroup_size: 256
    .name:           _ZN9rocsparseL12scale_kernelILj256EliiEEvT0_NS_24const_host_device_scalarIT2_EEPT1_b
    .private_segment_fixed_size: 0
    .sgpr_count:     14
    .sgpr_spill_count: 0
    .symbol:         _ZN9rocsparseL12scale_kernelILj256EliiEEvT0_NS_24const_host_device_scalarIT2_EEPT1_b.kd
    .uniform_work_group_size: 1
    .uses_dynamic_stack: false
    .vgpr_count:     3
    .vgpr_spill_count: 0
    .wavefront_size: 64
  - .agpr_count:     0
    .args:
      - .offset:         0
        .size:           8
        .value_kind:     by_value
      - .offset:         8
        .size:           8
        .value_kind:     by_value
      - .address_space:  global
        .offset:         16
        .size:           8
        .value_kind:     global_buffer
      - .offset:         24
        .size:           1
        .value_kind:     by_value
    .group_segment_fixed_size: 0
    .kernarg_segment_align: 8
    .kernarg_segment_size: 28
    .language:       OpenCL C
    .language_version:
      - 2
      - 0
    .max_flat_workgroup_size: 256
    .name:           _ZN9rocsparseL12scale_kernelILj256ElffEEvT0_NS_24const_host_device_scalarIT2_EEPT1_b
    .private_segment_fixed_size: 0
    .sgpr_count:     16
    .sgpr_spill_count: 0
    .symbol:         _ZN9rocsparseL12scale_kernelILj256ElffEEvT0_NS_24const_host_device_scalarIT2_EEPT1_b.kd
    .uniform_work_group_size: 1
    .uses_dynamic_stack: false
    .vgpr_count:     4
    .vgpr_spill_count: 0
    .wavefront_size: 64
  - .agpr_count:     0
    .args:
      - .offset:         0
        .size:           8
        .value_kind:     by_value
      - .offset:         8
        .size:           8
        .value_kind:     by_value
      - .address_space:  global
        .offset:         16
        .size:           8
        .value_kind:     global_buffer
      - .offset:         24
        .size:           1
        .value_kind:     by_value
    .group_segment_fixed_size: 0
    .kernarg_segment_align: 8
    .kernarg_segment_size: 28
    .language:       OpenCL C
    .language_version:
      - 2
      - 0
    .max_flat_workgroup_size: 256
    .name:           _ZN9rocsparseL12scale_kernelILj256ElddEEvT0_NS_24const_host_device_scalarIT2_EEPT1_b
    .private_segment_fixed_size: 0
    .sgpr_count:     16
    .sgpr_spill_count: 0
    .symbol:         _ZN9rocsparseL12scale_kernelILj256ElddEEvT0_NS_24const_host_device_scalarIT2_EEPT1_b.kd
    .uniform_work_group_size: 1
    .uses_dynamic_stack: false
    .vgpr_count:     6
    .vgpr_spill_count: 0
    .wavefront_size: 64
  - .agpr_count:     0
    .args:
      - .offset:         0
        .size:           8
        .value_kind:     by_value
      - .offset:         8
        .size:           8
        .value_kind:     by_value
      - .address_space:  global
        .offset:         16
        .size:           8
        .value_kind:     global_buffer
      - .offset:         24
        .size:           1
        .value_kind:     by_value
    .group_segment_fixed_size: 0
    .kernarg_segment_align: 8
    .kernarg_segment_size: 28
    .language:       OpenCL C
    .language_version:
      - 2
      - 0
    .max_flat_workgroup_size: 256
    .name:           _ZN9rocsparseL12scale_kernelILj256El21rocsparse_complex_numIfES2_EEvT0_NS_24const_host_device_scalarIT2_EEPT1_b
    .private_segment_fixed_size: 0
    .sgpr_count:     18
    .sgpr_spill_count: 0
    .symbol:         _ZN9rocsparseL12scale_kernelILj256El21rocsparse_complex_numIfES2_EEvT0_NS_24const_host_device_scalarIT2_EEPT1_b.kd
    .uniform_work_group_size: 1
    .uses_dynamic_stack: false
    .vgpr_count:     10
    .vgpr_spill_count: 0
    .wavefront_size: 64
  - .agpr_count:     0
    .args:
      - .offset:         0
        .size:           8
        .value_kind:     by_value
      - .offset:         8
        .size:           16
        .value_kind:     by_value
      - .address_space:  global
        .offset:         24
        .size:           8
        .value_kind:     global_buffer
      - .offset:         32
        .size:           1
        .value_kind:     by_value
    .group_segment_fixed_size: 0
    .kernarg_segment_align: 8
    .kernarg_segment_size: 36
    .language:       OpenCL C
    .language_version:
      - 2
      - 0
    .max_flat_workgroup_size: 256
    .name:           _ZN9rocsparseL12scale_kernelILj256El21rocsparse_complex_numIdES2_EEvT0_NS_24const_host_device_scalarIT2_EEPT1_b
    .private_segment_fixed_size: 0
    .sgpr_count:     18
    .sgpr_spill_count: 0
    .symbol:         _ZN9rocsparseL12scale_kernelILj256El21rocsparse_complex_numIdES2_EEvT0_NS_24const_host_device_scalarIT2_EEPT1_b.kd
    .uniform_work_group_size: 1
    .uses_dynamic_stack: false
    .vgpr_count:     14
    .vgpr_spill_count: 0
    .wavefront_size: 64
  - .agpr_count:     0
    .args:
      - .offset:         0
        .size:           4
        .value_kind:     by_value
      - .offset:         4
        .size:           4
        .value_kind:     by_value
      - .offset:         8
        .size:           8
        .value_kind:     by_value
      - .offset:         16
        .size:           8
        .value_kind:     by_value
      - .offset:         24
        .size:           8
        .value_kind:     by_value
      - .address_space:  global
        .offset:         32
        .size:           8
        .value_kind:     global_buffer
      - .offset:         40
        .size:           4
        .value_kind:     by_value
      - .offset:         44
        .size:           1
        .value_kind:     by_value
    .group_segment_fixed_size: 0
    .kernarg_segment_align: 8
    .kernarg_segment_size: 48
    .language:       OpenCL C
    .language_version:
      - 2
      - 0
    .max_flat_workgroup_size: 256
    .name:           _ZN9rocsparseL15scale_2d_kernelILj256EiDF16_EEvT0_S1_llNS_24const_host_device_scalarIT1_EEPS3_16rocsparse_order_b
    .private_segment_fixed_size: 0
    .sgpr_count:     17
    .sgpr_spill_count: 0
    .symbol:         _ZN9rocsparseL15scale_2d_kernelILj256EiDF16_EEvT0_S1_llNS_24const_host_device_scalarIT1_EEPS3_16rocsparse_order_b.kd
    .uniform_work_group_size: 1
    .uses_dynamic_stack: false
    .vgpr_count:     8
    .vgpr_spill_count: 0
    .wavefront_size: 64
  - .agpr_count:     0
    .args:
      - .offset:         0
        .size:           4
        .value_kind:     by_value
      - .offset:         4
        .size:           4
        .value_kind:     by_value
      - .offset:         8
        .size:           8
        .value_kind:     by_value
      - .offset:         16
        .size:           8
        .value_kind:     by_value
      - .offset:         24
        .size:           8
        .value_kind:     by_value
      - .address_space:  global
        .offset:         32
        .size:           8
        .value_kind:     global_buffer
      - .offset:         40
        .size:           4
        .value_kind:     by_value
      - .offset:         44
        .size:           1
        .value_kind:     by_value
    .group_segment_fixed_size: 0
    .kernarg_segment_align: 8
    .kernarg_segment_size: 48
    .language:       OpenCL C
    .language_version:
      - 2
      - 0
    .max_flat_workgroup_size: 256
    .name:           _ZN9rocsparseL15scale_2d_kernelILj256EiiEEvT0_S1_llNS_24const_host_device_scalarIT1_EEPS3_16rocsparse_order_b
    .private_segment_fixed_size: 0
    .sgpr_count:     18
    .sgpr_spill_count: 0
    .symbol:         _ZN9rocsparseL15scale_2d_kernelILj256EiiEEvT0_S1_llNS_24const_host_device_scalarIT1_EEPS3_16rocsparse_order_b.kd
    .uniform_work_group_size: 1
    .uses_dynamic_stack: false
    .vgpr_count:     6
    .vgpr_spill_count: 0
    .wavefront_size: 64
  - .agpr_count:     0
    .args:
      - .offset:         0
        .size:           4
        .value_kind:     by_value
      - .offset:         4
        .size:           4
        .value_kind:     by_value
      - .offset:         8
        .size:           8
        .value_kind:     by_value
      - .offset:         16
        .size:           8
        .value_kind:     by_value
      - .offset:         24
        .size:           8
        .value_kind:     by_value
      - .address_space:  global
        .offset:         32
        .size:           8
        .value_kind:     global_buffer
      - .offset:         40
        .size:           4
        .value_kind:     by_value
      - .offset:         44
        .size:           1
        .value_kind:     by_value
    .group_segment_fixed_size: 0
    .kernarg_segment_align: 8
    .kernarg_segment_size: 48
    .language:       OpenCL C
    .language_version:
      - 2
      - 0
    .max_flat_workgroup_size: 256
    .name:           _ZN9rocsparseL15scale_2d_kernelILj256EifEEvT0_S1_llNS_24const_host_device_scalarIT1_EEPS3_16rocsparse_order_b
    .private_segment_fixed_size: 0
    .sgpr_count:     18
    .sgpr_spill_count: 0
    .symbol:         _ZN9rocsparseL15scale_2d_kernelILj256EifEEvT0_S1_llNS_24const_host_device_scalarIT1_EEPS3_16rocsparse_order_b.kd
    .uniform_work_group_size: 1
    .uses_dynamic_stack: false
    .vgpr_count:     8
    .vgpr_spill_count: 0
    .wavefront_size: 64
  - .agpr_count:     0
    .args:
      - .offset:         0
        .size:           4
        .value_kind:     by_value
      - .offset:         4
        .size:           4
        .value_kind:     by_value
      - .offset:         8
        .size:           8
        .value_kind:     by_value
      - .offset:         16
        .size:           8
        .value_kind:     by_value
      - .offset:         24
        .size:           8
        .value_kind:     by_value
      - .address_space:  global
        .offset:         32
        .size:           8
        .value_kind:     global_buffer
      - .offset:         40
        .size:           4
        .value_kind:     by_value
      - .offset:         44
        .size:           1
        .value_kind:     by_value
    .group_segment_fixed_size: 0
    .kernarg_segment_align: 8
    .kernarg_segment_size: 48
    .language:       OpenCL C
    .language_version:
      - 2
      - 0
    .max_flat_workgroup_size: 256
    .name:           _ZN9rocsparseL15scale_2d_kernelILj256EidEEvT0_S1_llNS_24const_host_device_scalarIT1_EEPS3_16rocsparse_order_b
    .private_segment_fixed_size: 0
    .sgpr_count:     17
    .sgpr_spill_count: 0
    .symbol:         _ZN9rocsparseL15scale_2d_kernelILj256EidEEvT0_S1_llNS_24const_host_device_scalarIT1_EEPS3_16rocsparse_order_b.kd
    .uniform_work_group_size: 1
    .uses_dynamic_stack: false
    .vgpr_count:     10
    .vgpr_spill_count: 0
    .wavefront_size: 64
  - .agpr_count:     0
    .args:
      - .offset:         0
        .size:           4
        .value_kind:     by_value
      - .offset:         4
        .size:           4
        .value_kind:     by_value
      - .offset:         8
        .size:           8
        .value_kind:     by_value
      - .offset:         16
        .size:           8
        .value_kind:     by_value
      - .offset:         24
        .size:           8
        .value_kind:     by_value
      - .address_space:  global
        .offset:         32
        .size:           8
        .value_kind:     global_buffer
      - .offset:         40
        .size:           4
        .value_kind:     by_value
      - .offset:         44
        .size:           1
        .value_kind:     by_value
    .group_segment_fixed_size: 0
    .kernarg_segment_align: 8
    .kernarg_segment_size: 48
    .language:       OpenCL C
    .language_version:
      - 2
      - 0
    .max_flat_workgroup_size: 256
    .name:           _ZN9rocsparseL15scale_2d_kernelILj256Ei21rocsparse_complex_numIfEEEvT0_S3_llNS_24const_host_device_scalarIT1_EEPS5_16rocsparse_order_b
    .private_segment_fixed_size: 0
    .sgpr_count:     17
    .sgpr_spill_count: 0
    .symbol:         _ZN9rocsparseL15scale_2d_kernelILj256Ei21rocsparse_complex_numIfEEEvT0_S3_llNS_24const_host_device_scalarIT1_EEPS5_16rocsparse_order_b.kd
    .uniform_work_group_size: 1
    .uses_dynamic_stack: false
    .vgpr_count:     10
    .vgpr_spill_count: 0
    .wavefront_size: 64
  - .agpr_count:     0
    .args:
      - .offset:         0
        .size:           4
        .value_kind:     by_value
      - .offset:         4
        .size:           4
        .value_kind:     by_value
      - .offset:         8
        .size:           8
        .value_kind:     by_value
      - .offset:         16
        .size:           8
        .value_kind:     by_value
      - .offset:         24
        .size:           16
        .value_kind:     by_value
      - .address_space:  global
        .offset:         40
        .size:           8
        .value_kind:     global_buffer
      - .offset:         48
        .size:           4
        .value_kind:     by_value
      - .offset:         52
        .size:           1
        .value_kind:     by_value
    .group_segment_fixed_size: 0
    .kernarg_segment_align: 8
    .kernarg_segment_size: 56
    .language:       OpenCL C
    .language_version:
      - 2
      - 0
    .max_flat_workgroup_size: 256
    .name:           _ZN9rocsparseL15scale_2d_kernelILj256Ei21rocsparse_complex_numIdEEEvT0_S3_llNS_24const_host_device_scalarIT1_EEPS5_16rocsparse_order_b
    .private_segment_fixed_size: 0
    .sgpr_count:     18
    .sgpr_spill_count: 0
    .symbol:         _ZN9rocsparseL15scale_2d_kernelILj256Ei21rocsparse_complex_numIdEEEvT0_S3_llNS_24const_host_device_scalarIT1_EEPS5_16rocsparse_order_b.kd
    .uniform_work_group_size: 1
    .uses_dynamic_stack: false
    .vgpr_count:     14
    .vgpr_spill_count: 0
    .wavefront_size: 64
  - .agpr_count:     0
    .args:
      - .offset:         0
        .size:           8
        .value_kind:     by_value
      - .offset:         8
        .size:           8
        .value_kind:     by_value
      - .offset:         16
        .size:           8
        .value_kind:     by_value
      - .offset:         24
        .size:           8
        .value_kind:     by_value
      - .offset:         32
        .size:           8
        .value_kind:     by_value
      - .address_space:  global
        .offset:         40
        .size:           8
        .value_kind:     global_buffer
      - .offset:         48
        .size:           4
        .value_kind:     by_value
      - .offset:         52
        .size:           1
        .value_kind:     by_value
    .group_segment_fixed_size: 0
    .kernarg_segment_align: 8
    .kernarg_segment_size: 56
    .language:       OpenCL C
    .language_version:
      - 2
      - 0
    .max_flat_workgroup_size: 256
    .name:           _ZN9rocsparseL15scale_2d_kernelILj256ElDF16_EEvT0_S1_llNS_24const_host_device_scalarIT1_EEPS3_16rocsparse_order_b
    .private_segment_fixed_size: 0
    .sgpr_count:     30
    .sgpr_spill_count: 0
    .symbol:         _ZN9rocsparseL15scale_2d_kernelILj256ElDF16_EEvT0_S1_llNS_24const_host_device_scalarIT1_EEPS3_16rocsparse_order_b.kd
    .uniform_work_group_size: 1
    .uses_dynamic_stack: false
    .vgpr_count:     14
    .vgpr_spill_count: 0
    .wavefront_size: 64
  - .agpr_count:     0
    .args:
      - .offset:         0
        .size:           8
        .value_kind:     by_value
      - .offset:         8
        .size:           8
        .value_kind:     by_value
      - .offset:         16
        .size:           8
        .value_kind:     by_value
      - .offset:         24
        .size:           8
        .value_kind:     by_value
      - .offset:         32
        .size:           8
        .value_kind:     by_value
      - .address_space:  global
        .offset:         40
        .size:           8
        .value_kind:     global_buffer
      - .offset:         48
        .size:           4
        .value_kind:     by_value
      - .offset:         52
        .size:           1
        .value_kind:     by_value
    .group_segment_fixed_size: 0
    .kernarg_segment_align: 8
    .kernarg_segment_size: 56
    .language:       OpenCL C
    .language_version:
      - 2
      - 0
    .max_flat_workgroup_size: 256
    .name:           _ZN9rocsparseL15scale_2d_kernelILj256EliEEvT0_S1_llNS_24const_host_device_scalarIT1_EEPS3_16rocsparse_order_b
    .private_segment_fixed_size: 0
    .sgpr_count:     31
    .sgpr_spill_count: 0
    .symbol:         _ZN9rocsparseL15scale_2d_kernelILj256EliEEvT0_S1_llNS_24const_host_device_scalarIT1_EEPS3_16rocsparse_order_b.kd
    .uniform_work_group_size: 1
    .uses_dynamic_stack: false
    .vgpr_count:     12
    .vgpr_spill_count: 0
    .wavefront_size: 64
  - .agpr_count:     0
    .args:
      - .offset:         0
        .size:           8
        .value_kind:     by_value
      - .offset:         8
        .size:           8
        .value_kind:     by_value
      - .offset:         16
        .size:           8
        .value_kind:     by_value
      - .offset:         24
        .size:           8
        .value_kind:     by_value
      - .offset:         32
        .size:           8
        .value_kind:     by_value
      - .address_space:  global
        .offset:         40
        .size:           8
        .value_kind:     global_buffer
      - .offset:         48
        .size:           4
        .value_kind:     by_value
      - .offset:         52
        .size:           1
        .value_kind:     by_value
    .group_segment_fixed_size: 0
    .kernarg_segment_align: 8
    .kernarg_segment_size: 56
    .language:       OpenCL C
    .language_version:
      - 2
      - 0
    .max_flat_workgroup_size: 256
    .name:           _ZN9rocsparseL15scale_2d_kernelILj256ElfEEvT0_S1_llNS_24const_host_device_scalarIT1_EEPS3_16rocsparse_order_b
    .private_segment_fixed_size: 0
    .sgpr_count:     31
    .sgpr_spill_count: 0
    .symbol:         _ZN9rocsparseL15scale_2d_kernelILj256ElfEEvT0_S1_llNS_24const_host_device_scalarIT1_EEPS3_16rocsparse_order_b.kd
    .uniform_work_group_size: 1
    .uses_dynamic_stack: false
    .vgpr_count:     12
    .vgpr_spill_count: 0
    .wavefront_size: 64
  - .agpr_count:     0
    .args:
      - .offset:         0
        .size:           8
        .value_kind:     by_value
      - .offset:         8
        .size:           8
        .value_kind:     by_value
      - .offset:         16
        .size:           8
        .value_kind:     by_value
      - .offset:         24
        .size:           8
        .value_kind:     by_value
      - .offset:         32
        .size:           8
        .value_kind:     by_value
      - .address_space:  global
        .offset:         40
        .size:           8
        .value_kind:     global_buffer
      - .offset:         48
        .size:           4
        .value_kind:     by_value
      - .offset:         52
        .size:           1
        .value_kind:     by_value
    .group_segment_fixed_size: 0
    .kernarg_segment_align: 8
    .kernarg_segment_size: 56
    .language:       OpenCL C
    .language_version:
      - 2
      - 0
    .max_flat_workgroup_size: 256
    .name:           _ZN9rocsparseL15scale_2d_kernelILj256EldEEvT0_S1_llNS_24const_host_device_scalarIT1_EEPS3_16rocsparse_order_b
    .private_segment_fixed_size: 0
    .sgpr_count:     30
    .sgpr_spill_count: 0
    .symbol:         _ZN9rocsparseL15scale_2d_kernelILj256EldEEvT0_S1_llNS_24const_host_device_scalarIT1_EEPS3_16rocsparse_order_b.kd
    .uniform_work_group_size: 1
    .uses_dynamic_stack: false
    .vgpr_count:     14
    .vgpr_spill_count: 0
    .wavefront_size: 64
  - .agpr_count:     0
    .args:
      - .offset:         0
        .size:           8
        .value_kind:     by_value
      - .offset:         8
        .size:           8
        .value_kind:     by_value
      - .offset:         16
        .size:           8
        .value_kind:     by_value
      - .offset:         24
        .size:           8
        .value_kind:     by_value
      - .offset:         32
        .size:           8
        .value_kind:     by_value
      - .address_space:  global
        .offset:         40
        .size:           8
        .value_kind:     global_buffer
      - .offset:         48
        .size:           4
        .value_kind:     by_value
      - .offset:         52
        .size:           1
        .value_kind:     by_value
    .group_segment_fixed_size: 0
    .kernarg_segment_align: 8
    .kernarg_segment_size: 56
    .language:       OpenCL C
    .language_version:
      - 2
      - 0
    .max_flat_workgroup_size: 256
    .name:           _ZN9rocsparseL15scale_2d_kernelILj256El21rocsparse_complex_numIfEEEvT0_S3_llNS_24const_host_device_scalarIT1_EEPS5_16rocsparse_order_b
    .private_segment_fixed_size: 0
    .sgpr_count:     30
    .sgpr_spill_count: 0
    .symbol:         _ZN9rocsparseL15scale_2d_kernelILj256El21rocsparse_complex_numIfEEEvT0_S3_llNS_24const_host_device_scalarIT1_EEPS5_16rocsparse_order_b.kd
    .uniform_work_group_size: 1
    .uses_dynamic_stack: false
    .vgpr_count:     14
    .vgpr_spill_count: 0
    .wavefront_size: 64
  - .agpr_count:     0
    .args:
      - .offset:         0
        .size:           8
        .value_kind:     by_value
      - .offset:         8
        .size:           8
        .value_kind:     by_value
      - .offset:         16
        .size:           8
        .value_kind:     by_value
      - .offset:         24
        .size:           8
        .value_kind:     by_value
      - .offset:         32
        .size:           16
        .value_kind:     by_value
      - .address_space:  global
        .offset:         48
        .size:           8
        .value_kind:     global_buffer
      - .offset:         56
        .size:           4
        .value_kind:     by_value
      - .offset:         60
        .size:           1
        .value_kind:     by_value
    .group_segment_fixed_size: 0
    .kernarg_segment_align: 8
    .kernarg_segment_size: 64
    .language:       OpenCL C
    .language_version:
      - 2
      - 0
    .max_flat_workgroup_size: 256
    .name:           _ZN9rocsparseL15scale_2d_kernelILj256El21rocsparse_complex_numIdEEEvT0_S3_llNS_24const_host_device_scalarIT1_EEPS5_16rocsparse_order_b
    .private_segment_fixed_size: 0
    .sgpr_count:     30
    .sgpr_spill_count: 0
    .symbol:         _ZN9rocsparseL15scale_2d_kernelILj256El21rocsparse_complex_numIdEEEvT0_S3_llNS_24const_host_device_scalarIT1_EEPS5_16rocsparse_order_b.kd
    .uniform_work_group_size: 1
    .uses_dynamic_stack: false
    .vgpr_count:     16
    .vgpr_spill_count: 0
    .wavefront_size: 64
  - .agpr_count:     0
    .args:
      - .offset:         0
        .size:           8
        .value_kind:     by_value
      - .address_space:  global
        .offset:         8
        .size:           8
        .value_kind:     global_buffer
      - .address_space:  global
        .offset:         16
        .size:           8
        .value_kind:     global_buffer
      - .offset:         24
        .size:           4
        .value_kind:     by_value
      - .offset:         28
        .size:           4
        .value_kind:     by_value
    .group_segment_fixed_size: 0
    .kernarg_segment_align: 8
    .kernarg_segment_size: 32
    .language:       OpenCL C
    .language_version:
      - 2
      - 0
    .max_flat_workgroup_size: 256
    .name:           _ZN9rocsparseL11copy_kernelILj256EiiEEvlPKT0_PT1_21rocsparse_index_base_S6_
    .private_segment_fixed_size: 0
    .sgpr_count:     14
    .sgpr_spill_count: 0
    .symbol:         _ZN9rocsparseL11copy_kernelILj256EiiEEvlPKT0_PT1_21rocsparse_index_base_S6_.kd
    .uniform_work_group_size: 1
    .uses_dynamic_stack: false
    .vgpr_count:     4
    .vgpr_spill_count: 0
    .wavefront_size: 64
  - .agpr_count:     0
    .args:
      - .offset:         0
        .size:           8
        .value_kind:     by_value
      - .address_space:  global
        .offset:         8
        .size:           8
        .value_kind:     global_buffer
      - .address_space:  global
        .offset:         16
        .size:           8
        .value_kind:     global_buffer
      - .offset:         24
        .size:           4
        .value_kind:     by_value
      - .offset:         28
        .size:           4
        .value_kind:     by_value
    .group_segment_fixed_size: 0
    .kernarg_segment_align: 8
    .kernarg_segment_size: 32
    .language:       OpenCL C
    .language_version:
      - 2
      - 0
    .max_flat_workgroup_size: 256
    .name:           _ZN9rocsparseL11copy_kernelILj256EilEEvlPKT0_PT1_21rocsparse_index_base_S6_
    .private_segment_fixed_size: 0
    .sgpr_count:     14
    .sgpr_spill_count: 0
    .symbol:         _ZN9rocsparseL11copy_kernelILj256EilEEvlPKT0_PT1_21rocsparse_index_base_S6_.kd
    .uniform_work_group_size: 1
    .uses_dynamic_stack: false
    .vgpr_count:     5
    .vgpr_spill_count: 0
    .wavefront_size: 64
  - .agpr_count:     0
    .args:
      - .offset:         0
        .size:           8
        .value_kind:     by_value
      - .address_space:  global
        .offset:         8
        .size:           8
        .value_kind:     global_buffer
      - .address_space:  global
        .offset:         16
        .size:           8
        .value_kind:     global_buffer
      - .offset:         24
        .size:           4
        .value_kind:     by_value
      - .offset:         28
        .size:           4
        .value_kind:     by_value
    .group_segment_fixed_size: 0
    .kernarg_segment_align: 8
    .kernarg_segment_size: 32
    .language:       OpenCL C
    .language_version:
      - 2
      - 0
    .max_flat_workgroup_size: 256
    .name:           _ZN9rocsparseL11copy_kernelILj256EliEEvlPKT0_PT1_21rocsparse_index_base_S6_
    .private_segment_fixed_size: 0
    .sgpr_count:     14
    .sgpr_spill_count: 0
    .symbol:         _ZN9rocsparseL11copy_kernelILj256EliEEvlPKT0_PT1_21rocsparse_index_base_S6_.kd
    .uniform_work_group_size: 1
    .uses_dynamic_stack: false
    .vgpr_count:     5
    .vgpr_spill_count: 0
    .wavefront_size: 64
  - .agpr_count:     0
    .args:
      - .offset:         0
        .size:           8
        .value_kind:     by_value
      - .address_space:  global
        .offset:         8
        .size:           8
        .value_kind:     global_buffer
      - .address_space:  global
        .offset:         16
        .size:           8
        .value_kind:     global_buffer
      - .offset:         24
        .size:           4
        .value_kind:     by_value
      - .offset:         28
        .size:           4
        .value_kind:     by_value
    .group_segment_fixed_size: 0
    .kernarg_segment_align: 8
    .kernarg_segment_size: 32
    .language:       OpenCL C
    .language_version:
      - 2
      - 0
    .max_flat_workgroup_size: 256
    .name:           _ZN9rocsparseL11copy_kernelILj256EllEEvlPKT0_PT1_21rocsparse_index_base_S6_
    .private_segment_fixed_size: 0
    .sgpr_count:     14
    .sgpr_spill_count: 0
    .symbol:         _ZN9rocsparseL11copy_kernelILj256EllEEvlPKT0_PT1_21rocsparse_index_base_S6_.kd
    .uniform_work_group_size: 1
    .uses_dynamic_stack: false
    .vgpr_count:     4
    .vgpr_spill_count: 0
    .wavefront_size: 64
  - .agpr_count:     0
    .args:
      - .offset:         0
        .size:           8
        .value_kind:     by_value
      - .address_space:  global
        .offset:         8
        .size:           8
        .value_kind:     global_buffer
      - .address_space:  global
        .offset:         16
        .size:           8
        .value_kind:     global_buffer
      - .offset:         24
        .size:           8
        .value_kind:     by_value
      - .offset:         32
        .size:           1
        .value_kind:     by_value
    .group_segment_fixed_size: 0
    .kernarg_segment_align: 8
    .kernarg_segment_size: 36
    .language:       OpenCL C
    .language_version:
      - 2
      - 0
    .max_flat_workgroup_size: 256
    .name:           _ZN9rocsparseL21copy_and_scale_kernelILj256EfEEvlPKT0_PS1_NS_24const_host_device_scalarIS1_EEb
    .private_segment_fixed_size: 0
    .sgpr_count:     18
    .sgpr_spill_count: 0
    .symbol:         _ZN9rocsparseL21copy_and_scale_kernelILj256EfEEvlPKT0_PS1_NS_24const_host_device_scalarIS1_EEb.kd
    .uniform_work_group_size: 1
    .uses_dynamic_stack: false
    .vgpr_count:     6
    .vgpr_spill_count: 0
    .wavefront_size: 64
  - .agpr_count:     0
    .args:
      - .offset:         0
        .size:           8
        .value_kind:     by_value
      - .address_space:  global
        .offset:         8
        .size:           8
        .value_kind:     global_buffer
      - .address_space:  global
        .offset:         16
        .size:           8
        .value_kind:     global_buffer
      - .offset:         24
        .size:           8
        .value_kind:     by_value
      - .offset:         32
        .size:           1
        .value_kind:     by_value
    .group_segment_fixed_size: 0
    .kernarg_segment_align: 8
    .kernarg_segment_size: 36
    .language:       OpenCL C
    .language_version:
      - 2
      - 0
    .max_flat_workgroup_size: 256
    .name:           _ZN9rocsparseL21copy_and_scale_kernelILj256EdEEvlPKT0_PS1_NS_24const_host_device_scalarIS1_EEb
    .private_segment_fixed_size: 0
    .sgpr_count:     18
    .sgpr_spill_count: 0
    .symbol:         _ZN9rocsparseL21copy_and_scale_kernelILj256EdEEvlPKT0_PS1_NS_24const_host_device_scalarIS1_EEb.kd
    .uniform_work_group_size: 1
    .uses_dynamic_stack: false
    .vgpr_count:     6
    .vgpr_spill_count: 0
    .wavefront_size: 64
  - .agpr_count:     0
    .args:
      - .offset:         0
        .size:           8
        .value_kind:     by_value
      - .address_space:  global
        .offset:         8
        .size:           8
        .value_kind:     global_buffer
      - .address_space:  global
        .offset:         16
        .size:           8
        .value_kind:     global_buffer
      - .offset:         24
        .size:           8
        .value_kind:     by_value
      - .offset:         32
        .size:           1
        .value_kind:     by_value
    .group_segment_fixed_size: 0
    .kernarg_segment_align: 8
    .kernarg_segment_size: 36
    .language:       OpenCL C
    .language_version:
      - 2
      - 0
    .max_flat_workgroup_size: 256
    .name:           _ZN9rocsparseL21copy_and_scale_kernelILj256E21rocsparse_complex_numIfEEEvlPKT0_PS3_NS_24const_host_device_scalarIS3_EEb
    .private_segment_fixed_size: 0
    .sgpr_count:     20
    .sgpr_spill_count: 0
    .symbol:         _ZN9rocsparseL21copy_and_scale_kernelILj256E21rocsparse_complex_numIfEEEvlPKT0_PS3_NS_24const_host_device_scalarIS3_EEb.kd
    .uniform_work_group_size: 1
    .uses_dynamic_stack: false
    .vgpr_count:     8
    .vgpr_spill_count: 0
    .wavefront_size: 64
  - .agpr_count:     0
    .args:
      - .offset:         0
        .size:           8
        .value_kind:     by_value
      - .address_space:  global
        .offset:         8
        .size:           8
        .value_kind:     global_buffer
      - .address_space:  global
        .offset:         16
        .size:           8
        .value_kind:     global_buffer
      - .offset:         24
        .size:           16
        .value_kind:     by_value
      - .offset:         40
        .size:           1
        .value_kind:     by_value
    .group_segment_fixed_size: 0
    .kernarg_segment_align: 8
    .kernarg_segment_size: 44
    .language:       OpenCL C
    .language_version:
      - 2
      - 0
    .max_flat_workgroup_size: 256
    .name:           _ZN9rocsparseL21copy_and_scale_kernelILj256E21rocsparse_complex_numIdEEEvlPKT0_PS3_NS_24const_host_device_scalarIS3_EEb
    .private_segment_fixed_size: 16
    .sgpr_count:     22
    .sgpr_spill_count: 0
    .symbol:         _ZN9rocsparseL21copy_and_scale_kernelILj256E21rocsparse_complex_numIdEEEvlPKT0_PS3_NS_24const_host_device_scalarIS3_EEb.kd
    .uniform_work_group_size: 1
    .uses_dynamic_stack: false
    .vgpr_count:     14
    .vgpr_spill_count: 0
    .wavefront_size: 64
amdhsa.target:   amdgcn-amd-amdhsa--gfx950
amdhsa.version:
  - 1
  - 2
...

	.end_amdgpu_metadata
